;; amdgpu-corpus repo=ROCm/rocFFT kind=compiled arch=gfx906 opt=O3
	.text
	.amdgcn_target "amdgcn-amd-amdhsa--gfx906"
	.amdhsa_code_object_version 6
	.protected	bluestein_single_back_len1430_dim1_dp_op_CI_CI ; -- Begin function bluestein_single_back_len1430_dim1_dp_op_CI_CI
	.globl	bluestein_single_back_len1430_dim1_dp_op_CI_CI
	.p2align	8
	.type	bluestein_single_back_len1430_dim1_dp_op_CI_CI,@function
bluestein_single_back_len1430_dim1_dp_op_CI_CI: ; @bluestein_single_back_len1430_dim1_dp_op_CI_CI
; %bb.0:
	s_load_dwordx4 s[0:3], s[4:5], 0x28
	v_mul_u32_u24_e32 v1, 0x1cb, v0
	v_add_u32_sdwa v128, s6, v1 dst_sel:DWORD dst_unused:UNUSED_PAD src0_sel:DWORD src1_sel:WORD_1
	v_mov_b32_e32 v129, 0
	s_waitcnt lgkmcnt(0)
	v_cmp_gt_u64_e32 vcc, s[0:1], v[128:129]
	s_and_saveexec_b64 s[0:1], vcc
	s_cbranch_execz .LBB0_23
; %bb.1:
	s_load_dwordx2 s[14:15], s[4:5], 0x0
	s_load_dwordx2 s[12:13], s[4:5], 0x38
	s_movk_i32 s0, 0x8f
	v_mul_lo_u16_sdwa v1, v1, s0 dst_sel:DWORD dst_unused:UNUSED_PAD src0_sel:WORD_1 src1_sel:DWORD
	v_sub_u16_e32 v198, v0, v1
	s_movk_i32 s0, 0x6e
	v_cmp_gt_u16_e64 s[0:1], s0, v198
	v_lshlrev_b32_e32 v197, 4, v198
	s_and_saveexec_b64 s[6:7], s[0:1]
	s_cbranch_execz .LBB0_3
; %bb.2:
	s_load_dwordx2 s[8:9], s[4:5], 0x18
	s_waitcnt lgkmcnt(0)
	s_load_dwordx4 s[8:11], s[8:9], 0x0
	s_waitcnt lgkmcnt(0)
	v_mad_u64_u32 v[0:1], s[16:17], s10, v128, 0
	v_mad_u64_u32 v[2:3], s[16:17], s8, v198, 0
	;; [unrolled: 1-line block ×4, first 2 shown]
	v_mov_b32_e32 v1, v4
	v_lshlrev_b64 v[0:1], 4, v[0:1]
	v_mov_b32_e32 v3, v5
	v_mov_b32_e32 v6, s3
	v_lshlrev_b64 v[2:3], 4, v[2:3]
	v_add_co_u32_e32 v0, vcc, s2, v0
	v_addc_co_u32_e32 v1, vcc, v6, v1, vcc
	v_add_co_u32_e32 v12, vcc, v0, v2
	v_addc_co_u32_e32 v13, vcc, v1, v3, vcc
	v_mov_b32_e32 v0, s15
	v_add_co_u32_e32 v100, vcc, s14, v197
	s_mul_i32 s2, s9, 0x6e0
	s_mul_hi_u32 s3, s8, 0x6e0
	v_addc_co_u32_e32 v101, vcc, 0, v0, vcc
	s_add_i32 s2, s3, s2
	s_mul_i32 s3, s8, 0x6e0
	v_mov_b32_e32 v4, s2
	v_add_co_u32_e32 v14, vcc, s3, v12
	v_addc_co_u32_e32 v15, vcc, v13, v4, vcc
	global_load_dwordx4 v[0:3], v197, s[14:15]
	global_load_dwordx4 v[4:7], v[12:13], off
	global_load_dwordx4 v[8:11], v[14:15], off
	v_mov_b32_e32 v12, s2
	v_add_co_u32_e32 v28, vcc, s3, v14
	v_addc_co_u32_e32 v29, vcc, v15, v12, vcc
	v_mov_b32_e32 v20, s2
	v_add_co_u32_e32 v30, vcc, s3, v28
	v_addc_co_u32_e32 v31, vcc, v29, v20, vcc
	s_movk_i32 s8, 0x1000
	v_add_co_u32_e32 v40, vcc, s8, v100
	v_addc_co_u32_e32 v41, vcc, 0, v101, vcc
	global_load_dwordx4 v[12:15], v197, s[14:15] offset:1760
	global_load_dwordx4 v[16:19], v197, s[14:15] offset:3520
	global_load_dwordx4 v[20:23], v[28:29], off
	global_load_dwordx4 v[24:27], v[30:31], off
	v_mov_b32_e32 v28, s2
	v_add_co_u32_e32 v42, vcc, s3, v30
	v_addc_co_u32_e32 v43, vcc, v31, v28, vcc
	global_load_dwordx4 v[28:31], v[42:43], off
	global_load_dwordx4 v[32:35], v[40:41], off offset:1184
	global_load_dwordx4 v[36:39], v[40:41], off offset:2944
	v_mov_b32_e32 v40, s2
	v_add_co_u32_e32 v44, vcc, s3, v42
	v_addc_co_u32_e32 v45, vcc, v43, v40, vcc
	s_movk_i32 s8, 0x2000
	v_add_co_u32_e32 v56, vcc, s8, v100
	v_addc_co_u32_e32 v57, vcc, 0, v101, vcc
	v_mov_b32_e32 v46, s2
	v_add_co_u32_e32 v58, vcc, s3, v44
	v_addc_co_u32_e32 v59, vcc, v45, v46, vcc
	global_load_dwordx4 v[40:43], v[44:45], off
	s_nop 0
	global_load_dwordx4 v[44:47], v[58:59], off
	global_load_dwordx4 v[48:51], v[56:57], off offset:608
	global_load_dwordx4 v[52:55], v[56:57], off offset:2368
	v_mov_b32_e32 v56, s2
	v_add_co_u32_e32 v60, vcc, s3, v58
	v_addc_co_u32_e32 v61, vcc, v59, v56, vcc
	s_movk_i32 s8, 0x3000
	v_add_co_u32_e32 v80, vcc, s8, v100
	v_addc_co_u32_e32 v81, vcc, 0, v101, vcc
	v_mov_b32_e32 v62, s2
	v_add_co_u32_e32 v72, vcc, s3, v60
	v_addc_co_u32_e32 v73, vcc, v61, v62, vcc
	v_mov_b32_e32 v74, s2
	v_add_co_u32_e32 v82, vcc, s3, v72
	v_addc_co_u32_e32 v83, vcc, v73, v74, vcc
	global_load_dwordx4 v[56:59], v[60:61], off
	s_nop 0
	global_load_dwordx4 v[60:63], v[72:73], off
	global_load_dwordx4 v[64:67], v[80:81], off offset:32
	global_load_dwordx4 v[68:71], v[80:81], off offset:1792
	s_nop 0
	global_load_dwordx4 v[72:75], v[82:83], off
	global_load_dwordx4 v[76:79], v[80:81], off offset:3552
	v_mov_b32_e32 v80, s2
	v_add_co_u32_e32 v84, vcc, s3, v82
	v_addc_co_u32_e32 v85, vcc, v83, v80, vcc
	s_movk_i32 s8, 0x4000
	v_add_co_u32_e32 v96, vcc, s8, v100
	v_addc_co_u32_e32 v97, vcc, 0, v101, vcc
	v_mov_b32_e32 v86, s2
	v_add_co_u32_e32 v98, vcc, s3, v84
	v_addc_co_u32_e32 v99, vcc, v85, v86, vcc
	global_load_dwordx4 v[80:83], v[84:85], off
	s_nop 0
	global_load_dwordx4 v[84:87], v[98:99], off
	global_load_dwordx4 v[88:91], v[96:97], off offset:1216
	global_load_dwordx4 v[92:95], v[96:97], off offset:2976
	v_mov_b32_e32 v97, s2
	v_add_co_u32_e32 v96, vcc, s3, v98
	v_addc_co_u32_e32 v97, vcc, v99, v97, vcc
	s_movk_i32 s2, 0x5000
	v_add_co_u32_e32 v100, vcc, s2, v100
	v_addc_co_u32_e32 v101, vcc, 0, v101, vcc
	global_load_dwordx4 v[96:99], v[96:97], off
	s_waitcnt vmcnt(23)
	v_mul_f64 v[104:105], v[6:7], v[2:3]
	global_load_dwordx4 v[100:103], v[100:101], off offset:640
	v_mul_f64 v[106:107], v[4:5], v[2:3]
	v_fma_f64 v[2:3], v[4:5], v[0:1], v[104:105]
	s_waitcnt vmcnt(20)
	v_mul_f64 v[104:105], v[22:23], v[18:19]
	v_fma_f64 v[4:5], v[6:7], v[0:1], -v[106:107]
	v_mul_f64 v[0:1], v[10:11], v[14:15]
	v_mul_f64 v[14:15], v[8:9], v[14:15]
	;; [unrolled: 1-line block ×3, first 2 shown]
	s_waitcnt vmcnt(17)
	v_mul_f64 v[106:107], v[26:27], v[34:35]
	v_mul_f64 v[34:35], v[24:25], v[34:35]
	s_waitcnt vmcnt(16)
	v_mul_f64 v[108:109], v[30:31], v[38:39]
	v_mul_f64 v[38:39], v[28:29], v[38:39]
	v_fma_f64 v[6:7], v[8:9], v[12:13], v[0:1]
	v_fma_f64 v[8:9], v[10:11], v[12:13], -v[14:15]
	v_fma_f64 v[10:11], v[20:21], v[16:17], v[104:105]
	v_fma_f64 v[12:13], v[22:23], v[16:17], -v[18:19]
	;; [unrolled: 2-line block ×4, first 2 shown]
	ds_write_b128 v197, v[2:5]
	ds_write_b128 v197, v[6:9] offset:1760
	ds_write_b128 v197, v[10:13] offset:3520
	;; [unrolled: 1-line block ×4, first 2 shown]
	s_waitcnt vmcnt(13)
	v_mul_f64 v[0:1], v[42:43], v[50:51]
	v_mul_f64 v[2:3], v[40:41], v[50:51]
	s_waitcnt vmcnt(12)
	v_mul_f64 v[4:5], v[46:47], v[54:55]
	v_mul_f64 v[6:7], v[44:45], v[54:55]
	v_fma_f64 v[0:1], v[40:41], v[48:49], v[0:1]
	v_fma_f64 v[2:3], v[42:43], v[48:49], -v[2:3]
	v_fma_f64 v[4:5], v[44:45], v[52:53], v[4:5]
	v_fma_f64 v[6:7], v[46:47], v[52:53], -v[6:7]
	s_waitcnt vmcnt(9)
	v_mul_f64 v[8:9], v[58:59], v[66:67]
	v_mul_f64 v[10:11], v[56:57], v[66:67]
	s_waitcnt vmcnt(8)
	v_mul_f64 v[12:13], v[62:63], v[70:71]
	v_mul_f64 v[14:15], v[60:61], v[70:71]
	;; [unrolled: 3-line block ×3, first 2 shown]
	v_fma_f64 v[8:9], v[56:57], v[64:65], v[8:9]
	v_fma_f64 v[10:11], v[58:59], v[64:65], -v[10:11]
	v_fma_f64 v[12:13], v[60:61], v[68:69], v[12:13]
	v_fma_f64 v[14:15], v[62:63], v[68:69], -v[14:15]
	;; [unrolled: 2-line block ×3, first 2 shown]
	s_waitcnt vmcnt(3)
	v_mul_f64 v[20:21], v[82:83], v[90:91]
	v_mul_f64 v[22:23], v[80:81], v[90:91]
	s_waitcnt vmcnt(2)
	v_mul_f64 v[24:25], v[86:87], v[94:95]
	v_mul_f64 v[26:27], v[84:85], v[94:95]
	v_fma_f64 v[20:21], v[80:81], v[88:89], v[20:21]
	v_fma_f64 v[22:23], v[82:83], v[88:89], -v[22:23]
	v_fma_f64 v[24:25], v[84:85], v[92:93], v[24:25]
	v_fma_f64 v[26:27], v[86:87], v[92:93], -v[26:27]
	s_waitcnt vmcnt(0)
	v_mul_f64 v[28:29], v[98:99], v[102:103]
	v_mul_f64 v[30:31], v[96:97], v[102:103]
	v_fma_f64 v[28:29], v[96:97], v[100:101], v[28:29]
	v_fma_f64 v[30:31], v[98:99], v[100:101], -v[30:31]
	ds_write_b128 v197, v[0:3] offset:8800
	ds_write_b128 v197, v[4:7] offset:10560
	;; [unrolled: 1-line block ×8, first 2 shown]
.LBB0_3:
	s_or_b64 exec, exec, s[6:7]
	s_waitcnt lgkmcnt(0)
	s_barrier
	s_waitcnt lgkmcnt(0)
                                        ; implicit-def: $vgpr28_vgpr29
                                        ; implicit-def: $vgpr48_vgpr49
                                        ; implicit-def: $vgpr36_vgpr37
                                        ; implicit-def: $vgpr24_vgpr25
                                        ; implicit-def: $vgpr16_vgpr17
                                        ; implicit-def: $vgpr8_vgpr9
                                        ; implicit-def: $vgpr0_vgpr1
                                        ; implicit-def: $vgpr4_vgpr5
                                        ; implicit-def: $vgpr12_vgpr13
                                        ; implicit-def: $vgpr20_vgpr21
                                        ; implicit-def: $vgpr32_vgpr33
                                        ; implicit-def: $vgpr44_vgpr45
                                        ; implicit-def: $vgpr40_vgpr41
	s_and_saveexec_b64 s[2:3], s[0:1]
	s_cbranch_execz .LBB0_5
; %bb.4:
	ds_read_b128 v[28:31], v197
	ds_read_b128 v[48:51], v197 offset:1760
	ds_read_b128 v[36:39], v197 offset:3520
	;; [unrolled: 1-line block ×12, first 2 shown]
.LBB0_5:
	s_or_b64 exec, exec, s[2:3]
	s_waitcnt lgkmcnt(11)
	v_add_f64 v[52:53], v[28:29], v[48:49]
	v_add_f64 v[54:55], v[30:31], v[50:51]
	s_waitcnt lgkmcnt(0)
	v_add_f64 v[56:57], v[48:49], v[40:41]
	v_add_f64 v[48:49], v[48:49], -v[40:41]
	s_mov_b32 s18, 0x2ef20147
	s_mov_b32 s22, 0x24c2f84
	;; [unrolled: 1-line block ×4, first 2 shown]
	v_add_f64 v[52:53], v[52:53], v[36:37]
	v_add_f64 v[54:55], v[54:55], v[38:39]
	;; [unrolled: 1-line block ×3, first 2 shown]
	v_add_f64 v[50:51], v[50:51], -v[42:43]
	v_mul_f64 v[74:75], v[48:49], s[18:19]
	v_mul_f64 v[78:79], v[48:49], s[22:23]
	s_mov_b32 s10, 0xb2365da1
	s_mov_b32 s20, 0xd0032e0c
	v_add_f64 v[52:53], v[52:53], v[24:25]
	v_add_f64 v[54:55], v[54:55], v[26:27]
	s_mov_b32 s11, 0xbfd6b1d8
	s_mov_b32 s21, 0xbfe7f3cc
	v_mul_f64 v[72:73], v[50:51], s[18:19]
	v_mul_f64 v[76:77], v[50:51], s[22:23]
	v_fma_f64 v[94:95], v[58:59], s[10:11], v[74:75]
	v_fma_f64 v[98:99], v[58:59], s[20:21], v[78:79]
	v_add_f64 v[52:53], v[52:53], v[16:17]
	v_add_f64 v[54:55], v[54:55], v[18:19]
	s_mov_b32 s24, 0x42a4c3d2
	s_mov_b32 s34, 0x66966769
	;; [unrolled: 1-line block ×6, first 2 shown]
	v_add_f64 v[52:53], v[52:53], v[8:9]
	v_add_f64 v[54:55], v[54:55], v[10:11]
	s_mov_b32 s35, 0xbfefc445
	s_mov_b32 s27, 0xbfcea1e5
	v_mul_f64 v[60:61], v[50:51], s[16:17]
	v_mul_f64 v[62:63], v[48:49], s[16:17]
	;; [unrolled: 1-line block ×4, first 2 shown]
	v_add_f64 v[52:53], v[52:53], v[0:1]
	v_add_f64 v[54:55], v[54:55], v[2:3]
	v_mul_f64 v[68:69], v[50:51], s[34:35]
	v_mul_f64 v[70:71], v[48:49], s[34:35]
	v_fma_f64 v[92:93], v[56:57], s[10:11], -v[72:73]
	v_fma_f64 v[72:73], v[56:57], s[10:11], v[72:73]
	v_fma_f64 v[74:75], v[58:59], s[10:11], -v[74:75]
	v_fma_f64 v[96:97], v[56:57], s[20:21], -v[76:77]
	v_add_f64 v[52:53], v[52:53], v[4:5]
	v_add_f64 v[54:55], v[54:55], v[6:7]
	v_mul_f64 v[50:51], v[50:51], s[26:27]
	v_mul_f64 v[48:49], v[48:49], s[26:27]
	s_mov_b32 s8, 0xe00740e9
	s_mov_b32 s6, 0x1ea71119
	s_mov_b32 s2, 0xebaa3ed8
	s_mov_b32 s28, 0x93053d00
	v_add_f64 v[52:53], v[52:53], v[12:13]
	v_add_f64 v[54:55], v[54:55], v[14:15]
	s_mov_b32 s9, 0x3fec55a7
	s_mov_b32 s7, 0x3fe22d96
	;; [unrolled: 1-line block ×4, first 2 shown]
	v_fma_f64 v[80:81], v[56:57], s[8:9], -v[60:61]
	v_fma_f64 v[82:83], v[58:59], s[8:9], v[62:63]
	v_add_f64 v[52:53], v[52:53], v[20:21]
	v_add_f64 v[54:55], v[54:55], v[22:23]
	v_fma_f64 v[60:61], v[56:57], s[8:9], v[60:61]
	v_fma_f64 v[62:63], v[58:59], s[8:9], -v[62:63]
	v_fma_f64 v[84:85], v[56:57], s[6:7], -v[64:65]
	v_fma_f64 v[86:87], v[58:59], s[6:7], v[66:67]
	v_fma_f64 v[64:65], v[56:57], s[6:7], v[64:65]
	v_fma_f64 v[66:67], v[58:59], s[6:7], -v[66:67]
	v_add_f64 v[52:53], v[52:53], v[32:33]
	v_add_f64 v[54:55], v[54:55], v[34:35]
	v_fma_f64 v[88:89], v[56:57], s[2:3], -v[68:69]
	v_fma_f64 v[90:91], v[58:59], s[2:3], v[70:71]
	v_fma_f64 v[68:69], v[56:57], s[2:3], v[68:69]
	v_fma_f64 v[70:71], v[58:59], s[2:3], -v[70:71]
	v_fma_f64 v[76:77], v[56:57], s[20:21], v[76:77]
	v_fma_f64 v[78:79], v[58:59], s[20:21], -v[78:79]
	v_add_f64 v[52:53], v[52:53], v[44:45]
	v_add_f64 v[54:55], v[54:55], v[46:47]
	v_fma_f64 v[100:101], v[56:57], s[28:29], -v[50:51]
	v_fma_f64 v[102:103], v[58:59], s[28:29], v[48:49]
	v_fma_f64 v[50:51], v[56:57], s[28:29], v[50:51]
	v_fma_f64 v[48:49], v[58:59], s[28:29], -v[48:49]
	v_add_f64 v[80:81], v[28:29], v[80:81]
	v_add_f64 v[82:83], v[30:31], v[82:83]
	;; [unrolled: 1-line block ×5, first 2 shown]
	v_add_f64 v[98:99], v[36:37], -v[44:45]
	v_add_f64 v[42:43], v[54:55], v[42:43]
	v_add_f64 v[54:55], v[28:29], v[72:73]
	;; [unrolled: 1-line block ×4, first 2 shown]
	v_add_f64 v[96:97], v[38:39], -v[46:47]
	v_add_f64 v[38:39], v[38:39], v[46:47]
	v_add_f64 v[60:61], v[28:29], v[60:61]
	v_mul_f64 v[46:47], v[98:99], s[24:25]
	v_add_f64 v[62:63], v[30:31], v[62:63]
	v_add_f64 v[84:85], v[28:29], v[84:85]
	;; [unrolled: 1-line block ×11, first 2 shown]
	v_mul_f64 v[44:45], v[96:97], s[24:25]
	v_add_f64 v[56:57], v[28:29], v[76:77]
	v_add_f64 v[58:59], v[30:31], v[78:79]
	v_fma_f64 v[78:79], v[38:39], s[6:7], v[46:47]
	v_add_f64 v[100:101], v[28:29], v[100:101]
	v_add_f64 v[102:103], v[30:31], v[102:103]
	;; [unrolled: 1-line block ×4, first 2 shown]
	v_mul_f64 v[48:49], v[96:97], s[18:19]
	v_mul_f64 v[50:51], v[98:99], s[18:19]
	v_fma_f64 v[76:77], v[36:37], s[6:7], -v[44:45]
	v_add_f64 v[78:79], v[78:79], v[82:83]
	v_mul_f64 v[82:83], v[98:99], s[26:27]
	v_fma_f64 v[44:45], v[36:37], s[6:7], v[44:45]
	v_fma_f64 v[46:47], v[38:39], s[6:7], -v[46:47]
	s_mov_b32 s37, 0x3fe5384d
	v_fma_f64 v[104:105], v[36:37], s[10:11], -v[48:49]
	v_fma_f64 v[106:107], v[38:39], s[10:11], v[50:51]
	s_mov_b32 s36, s22
	v_add_f64 v[76:77], v[76:77], v[80:81]
	v_mul_f64 v[80:81], v[96:97], s[26:27]
	v_fma_f64 v[50:51], v[38:39], s[10:11], -v[50:51]
	v_fma_f64 v[110:111], v[38:39], s[28:29], v[82:83]
	v_add_f64 v[44:45], v[44:45], v[60:61]
	v_add_f64 v[46:47], v[46:47], v[62:63]
	;; [unrolled: 1-line block ×4, first 2 shown]
	v_mul_f64 v[84:85], v[96:97], s[36:37]
	v_mul_f64 v[86:87], v[98:99], s[36:37]
	s_mov_b32 s31, 0x3fefc445
	s_mov_b32 s30, s34
	v_fma_f64 v[108:109], v[36:37], s[28:29], -v[80:81]
	v_add_f64 v[50:51], v[50:51], v[66:67]
	v_add_f64 v[66:67], v[110:111], v[90:91]
	v_fma_f64 v[80:81], v[36:37], s[28:29], v[80:81]
	v_mul_f64 v[90:91], v[98:99], s[30:31]
	v_fma_f64 v[104:105], v[36:37], s[20:21], -v[84:85]
	v_fma_f64 v[106:107], v[38:39], s[20:21], v[86:87]
	v_fma_f64 v[84:85], v[36:37], s[20:21], v[84:85]
	v_fma_f64 v[86:87], v[38:39], s[20:21], -v[86:87]
	v_fma_f64 v[48:49], v[36:37], s[10:11], v[48:49]
	v_fma_f64 v[82:83], v[38:39], s[28:29], -v[82:83]
	v_add_f64 v[68:69], v[80:81], v[68:69]
	v_fma_f64 v[80:81], v[38:39], s[2:3], v[90:91]
	s_mov_b32 s17, 0x3fddbe06
	v_fma_f64 v[90:91], v[38:39], s[2:3], -v[90:91]
	v_add_f64 v[54:55], v[84:85], v[54:55]
	v_add_f64 v[72:73], v[86:87], v[72:73]
	v_add_f64 v[84:85], v[26:27], -v[34:35]
	v_add_f64 v[86:87], v[24:25], -v[32:33]
	v_add_f64 v[48:49], v[48:49], v[64:65]
	v_add_f64 v[64:65], v[108:109], v[88:89]
	v_mul_f64 v[88:89], v[96:97], s[30:31]
	v_add_f64 v[70:71], v[82:83], v[70:71]
	v_add_f64 v[82:83], v[104:105], v[92:93]
	;; [unrolled: 1-line block ×3, first 2 shown]
	v_mul_f64 v[92:93], v[96:97], s[16:17]
	v_mul_f64 v[94:95], v[98:99], s[16:17]
	v_add_f64 v[24:25], v[24:25], v[32:33]
	v_add_f64 v[26:27], v[26:27], v[34:35]
	v_mul_f64 v[32:33], v[84:85], s[34:35]
	v_mul_f64 v[34:35], v[86:87], s[34:35]
	v_fma_f64 v[108:109], v[36:37], s[2:3], -v[88:89]
	v_fma_f64 v[88:89], v[36:37], s[2:3], v[88:89]
	v_fma_f64 v[96:97], v[36:37], s[8:9], -v[92:93]
	v_fma_f64 v[98:99], v[38:39], s[8:9], v[94:95]
	v_fma_f64 v[36:37], v[36:37], s[8:9], v[92:93]
	v_fma_f64 v[38:39], v[38:39], s[8:9], -v[94:95]
	v_fma_f64 v[92:93], v[24:25], s[2:3], -v[32:33]
	v_fma_f64 v[94:95], v[26:27], s[2:3], v[34:35]
	s_mov_b32 s39, 0x3fedeba7
	s_mov_b32 s38, s18
	v_fma_f64 v[32:33], v[24:25], s[2:3], v[32:33]
	v_add_f64 v[58:59], v[90:91], v[58:59]
	v_add_f64 v[28:29], v[36:37], v[28:29]
	;; [unrolled: 1-line block ×5, first 2 shown]
	v_mul_f64 v[78:79], v[86:87], s[26:27]
	v_mul_f64 v[92:93], v[84:85], s[38:39]
	v_add_f64 v[90:91], v[98:99], v[102:103]
	v_mul_f64 v[76:77], v[84:85], s[26:27]
	v_fma_f64 v[34:35], v[26:27], s[2:3], -v[34:35]
	v_mul_f64 v[94:95], v[86:87], s[38:39]
	v_add_f64 v[32:33], v[32:33], v[44:45]
	v_add_f64 v[56:57], v[88:89], v[56:57]
	v_fma_f64 v[98:99], v[26:27], s[28:29], v[78:79]
	v_fma_f64 v[78:79], v[26:27], s[28:29], -v[78:79]
	v_fma_f64 v[44:45], v[24:25], s[10:11], -v[92:93]
	v_add_f64 v[88:89], v[96:97], v[100:101]
	v_fma_f64 v[96:97], v[24:25], s[28:29], -v[76:77]
	v_fma_f64 v[76:77], v[24:25], s[28:29], v[76:77]
	v_add_f64 v[34:35], v[34:35], v[46:47]
	v_fma_f64 v[46:47], v[26:27], s[10:11], v[94:95]
	v_add_f64 v[74:75], v[108:109], v[74:75]
	v_add_f64 v[50:51], v[78:79], v[50:51]
	v_mul_f64 v[78:79], v[86:87], s[16:17]
	v_add_f64 v[44:45], v[44:45], v[64:65]
	v_fma_f64 v[64:65], v[24:25], s[10:11], v[92:93]
	v_mul_f64 v[92:93], v[84:85], s[24:25]
	v_add_f64 v[62:63], v[98:99], v[62:63]
	v_add_f64 v[48:49], v[76:77], v[48:49]
	v_mul_f64 v[76:77], v[84:85], s[16:17]
	v_add_f64 v[46:47], v[46:47], v[66:67]
	v_fma_f64 v[66:67], v[26:27], s[10:11], -v[94:95]
	v_mul_f64 v[94:95], v[86:87], s[24:25]
	v_fma_f64 v[98:99], v[26:27], s[8:9], v[78:79]
	v_fma_f64 v[78:79], v[26:27], s[8:9], -v[78:79]
	v_add_f64 v[64:65], v[64:65], v[68:69]
	v_fma_f64 v[68:69], v[24:25], s[6:7], -v[92:93]
	v_add_f64 v[60:61], v[96:97], v[60:61]
	v_fma_f64 v[96:97], v[24:25], s[8:9], -v[76:77]
	v_fma_f64 v[76:77], v[24:25], s[8:9], v[76:77]
	v_add_f64 v[66:67], v[66:67], v[70:71]
	v_fma_f64 v[70:71], v[26:27], s[6:7], v[94:95]
	v_add_f64 v[72:73], v[78:79], v[72:73]
	v_mul_f64 v[78:79], v[86:87], s[22:23]
	v_add_f64 v[68:69], v[68:69], v[74:75]
	v_add_f64 v[74:75], v[18:19], -v[22:23]
	v_fma_f64 v[86:87], v[26:27], s[6:7], -v[94:95]
	v_add_f64 v[54:55], v[76:77], v[54:55]
	v_mul_f64 v[76:77], v[84:85], s[22:23]
	v_add_f64 v[70:71], v[70:71], v[80:81]
	v_add_f64 v[80:81], v[16:17], -v[20:21]
	v_fma_f64 v[84:85], v[24:25], s[6:7], v[92:93]
	v_fma_f64 v[94:95], v[26:27], s[20:21], v[78:79]
	v_add_f64 v[16:17], v[16:17], v[20:21]
	v_mul_f64 v[20:21], v[74:75], s[18:19]
	v_fma_f64 v[26:27], v[26:27], s[20:21], -v[78:79]
	v_add_f64 v[18:19], v[18:19], v[22:23]
	v_add_f64 v[58:59], v[86:87], v[58:59]
	v_mul_f64 v[22:23], v[80:81], s[18:19]
	v_add_f64 v[56:57], v[84:85], v[56:57]
	v_add_f64 v[78:79], v[94:95], v[90:91]
	v_fma_f64 v[92:93], v[24:25], s[20:21], -v[76:77]
	v_fma_f64 v[84:85], v[16:17], s[10:11], -v[20:21]
	v_add_f64 v[26:27], v[26:27], v[30:31]
	v_mul_f64 v[30:31], v[80:81], s[36:37]
	v_fma_f64 v[20:21], v[16:17], s[10:11], v[20:21]
	v_fma_f64 v[86:87], v[18:19], s[10:11], v[22:23]
	;; [unrolled: 1-line block ×3, first 2 shown]
	v_add_f64 v[52:53], v[106:107], v[52:53]
	v_fma_f64 v[22:23], v[18:19], s[10:11], -v[22:23]
	v_add_f64 v[36:37], v[84:85], v[36:37]
	v_mul_f64 v[84:85], v[74:75], s[16:17]
	v_fma_f64 v[90:91], v[18:19], s[20:21], v[30:31]
	v_add_f64 v[20:21], v[20:21], v[32:33]
	v_add_f64 v[38:39], v[86:87], v[38:39]
	v_mul_f64 v[86:87], v[80:81], s[16:17]
	v_fma_f64 v[30:31], v[18:19], s[20:21], -v[30:31]
	v_add_f64 v[24:25], v[24:25], v[28:29]
	v_mul_f64 v[28:29], v[74:75], s[36:37]
	v_fma_f64 v[32:33], v[16:17], s[8:9], -v[84:85]
	v_add_f64 v[62:63], v[90:91], v[62:63]
	v_mul_f64 v[90:91], v[80:81], s[34:35]
	s_mov_b32 s37, 0x3fcea1e5
	s_mov_b32 s36, s26
	v_add_f64 v[52:53], v[98:99], v[52:53]
	v_add_f64 v[22:23], v[22:23], v[34:35]
	v_fma_f64 v[34:35], v[18:19], s[8:9], v[86:87]
	v_add_f64 v[30:31], v[30:31], v[50:51]
	v_add_f64 v[32:33], v[32:33], v[44:45]
	v_fma_f64 v[44:45], v[16:17], s[8:9], v[84:85]
	v_fma_f64 v[50:51], v[18:19], s[2:3], v[90:91]
	v_mul_f64 v[84:85], v[74:75], s[36:37]
	v_add_f64 v[76:77], v[92:93], v[88:89]
	v_fma_f64 v[88:89], v[16:17], s[20:21], -v[28:29]
	v_add_f64 v[34:35], v[34:35], v[46:47]
	v_fma_f64 v[46:47], v[18:19], s[8:9], -v[86:87]
	v_mul_f64 v[86:87], v[80:81], s[36:37]
	v_fma_f64 v[90:91], v[18:19], s[2:3], -v[90:91]
	v_add_f64 v[50:51], v[50:51], v[52:53]
	v_fma_f64 v[52:53], v[16:17], s[28:29], -v[84:85]
	v_fma_f64 v[28:29], v[16:17], s[20:21], v[28:29]
	v_add_f64 v[60:61], v[88:89], v[60:61]
	v_mul_f64 v[88:89], v[74:75], s[34:35]
	s_mov_b32 s35, 0x3fea55e2
	s_mov_b32 s34, s24
	v_add_f64 v[44:45], v[44:45], v[64:65]
	v_add_f64 v[46:47], v[46:47], v[66:67]
	v_fma_f64 v[64:65], v[18:19], s[28:29], v[86:87]
	v_add_f64 v[66:67], v[90:91], v[72:73]
	v_mul_f64 v[72:73], v[74:75], s[34:35]
	v_add_f64 v[52:53], v[52:53], v[68:69]
	v_add_f64 v[68:69], v[10:11], -v[14:15]
	v_add_f64 v[82:83], v[96:97], v[82:83]
	v_add_f64 v[28:29], v[28:29], v[48:49]
	v_fma_f64 v[48:49], v[16:17], s[2:3], -v[88:89]
	v_fma_f64 v[88:89], v[16:17], s[2:3], v[88:89]
	v_mul_f64 v[74:75], v[80:81], s[34:35]
	v_add_f64 v[64:65], v[64:65], v[70:71]
	v_add_f64 v[70:71], v[8:9], -v[12:13]
	v_fma_f64 v[80:81], v[16:17], s[28:29], v[84:85]
	v_fma_f64 v[84:85], v[16:17], s[6:7], -v[72:73]
	v_add_f64 v[8:9], v[8:9], v[12:13]
	v_mul_f64 v[12:13], v[68:69], s[22:23]
	v_fma_f64 v[16:17], v[16:17], s[6:7], v[72:73]
	v_add_f64 v[48:49], v[48:49], v[82:83]
	v_fma_f64 v[82:83], v[18:19], s[28:29], -v[86:87]
	v_fma_f64 v[86:87], v[18:19], s[6:7], v[74:75]
	v_add_f64 v[10:11], v[10:11], v[14:15]
	v_mul_f64 v[14:15], v[70:71], s[22:23]
	v_fma_f64 v[18:19], v[18:19], s[6:7], -v[74:75]
	v_add_f64 v[72:73], v[84:85], v[76:77]
	v_fma_f64 v[76:77], v[8:9], s[20:21], -v[12:13]
	v_add_f64 v[16:17], v[16:17], v[24:25]
	v_mul_f64 v[24:25], v[68:69], s[30:31]
	v_add_f64 v[56:57], v[80:81], v[56:57]
	v_add_f64 v[74:75], v[86:87], v[78:79]
	v_fma_f64 v[78:79], v[10:11], s[20:21], v[14:15]
	v_add_f64 v[18:19], v[18:19], v[26:27]
	v_mul_f64 v[26:27], v[70:71], s[30:31]
	v_fma_f64 v[12:13], v[8:9], s[20:21], v[12:13]
	v_fma_f64 v[14:15], v[10:11], s[20:21], -v[14:15]
	v_add_f64 v[36:37], v[76:77], v[36:37]
	v_mul_f64 v[76:77], v[68:69], s[24:25]
	v_fma_f64 v[80:81], v[8:9], s[2:3], -v[24:25]
	v_add_f64 v[58:59], v[82:83], v[58:59]
	v_add_f64 v[38:39], v[78:79], v[38:39]
	v_mul_f64 v[78:79], v[70:71], s[24:25]
	v_fma_f64 v[82:83], v[10:11], s[2:3], v[26:27]
	v_add_f64 v[12:13], v[12:13], v[20:21]
	v_add_f64 v[14:15], v[14:15], v[22:23]
	v_fma_f64 v[20:21], v[8:9], s[2:3], v[24:25]
	v_fma_f64 v[22:23], v[10:11], s[2:3], -v[26:27]
	v_fma_f64 v[24:25], v[8:9], s[6:7], -v[76:77]
	v_add_f64 v[60:61], v[80:81], v[60:61]
	v_mul_f64 v[80:81], v[68:69], s[36:37]
	v_add_f64 v[54:55], v[88:89], v[54:55]
	v_fma_f64 v[26:27], v[10:11], s[6:7], v[78:79]
	v_add_f64 v[62:63], v[82:83], v[62:63]
	v_mul_f64 v[82:83], v[70:71], s[36:37]
	v_add_f64 v[20:21], v[20:21], v[28:29]
	v_add_f64 v[22:23], v[22:23], v[30:31]
	;; [unrolled: 1-line block ×3, first 2 shown]
	v_fma_f64 v[28:29], v[8:9], s[6:7], v[76:77]
	v_fma_f64 v[30:31], v[10:11], s[6:7], -v[78:79]
	v_fma_f64 v[32:33], v[8:9], s[28:29], -v[80:81]
	v_mul_f64 v[76:77], v[68:69], s[16:17]
	v_mul_f64 v[78:79], v[70:71], s[16:17]
	v_fma_f64 v[80:81], v[8:9], s[28:29], v[80:81]
	v_add_f64 v[26:27], v[26:27], v[34:35]
	v_fma_f64 v[34:35], v[10:11], s[28:29], v[82:83]
	v_add_f64 v[28:29], v[28:29], v[44:45]
	v_add_f64 v[30:31], v[30:31], v[46:47]
	v_add_f64 v[86:87], v[2:3], -v[6:7]
	v_fma_f64 v[44:45], v[8:9], s[8:9], -v[76:77]
	v_fma_f64 v[46:47], v[10:11], s[8:9], v[78:79]
	v_add_f64 v[84:85], v[80:81], v[54:55]
	v_mul_f64 v[54:55], v[68:69], s[18:19]
	v_mul_f64 v[68:69], v[70:71], s[18:19]
	v_add_f64 v[88:89], v[0:1], -v[4:5]
	v_fma_f64 v[82:83], v[10:11], s[28:29], -v[82:83]
	v_add_f64 v[32:33], v[32:33], v[48:49]
	v_add_f64 v[34:35], v[34:35], v[50:51]
	v_fma_f64 v[48:49], v[8:9], s[8:9], v[76:77]
	v_fma_f64 v[50:51], v[10:11], s[8:9], -v[78:79]
	v_add_f64 v[70:71], v[44:45], v[52:53]
	v_add_f64 v[64:65], v[46:47], v[64:65]
	v_fma_f64 v[44:45], v[8:9], s[10:11], -v[54:55]
	v_fma_f64 v[46:47], v[10:11], s[10:11], v[68:69]
	v_add_f64 v[0:1], v[0:1], v[4:5]
	v_add_f64 v[2:3], v[2:3], v[6:7]
	v_mul_f64 v[4:5], v[86:87], s[26:27]
	v_mul_f64 v[6:7], v[88:89], s[26:27]
	v_fma_f64 v[8:9], v[8:9], s[10:11], v[54:55]
	v_fma_f64 v[10:11], v[10:11], s[10:11], -v[68:69]
	v_mul_f64 v[52:53], v[86:87], s[16:17]
	v_mul_f64 v[54:55], v[88:89], s[16:17]
	v_add_f64 v[68:69], v[44:45], v[72:73]
	v_add_f64 v[96:97], v[46:47], v[74:75]
	v_fma_f64 v[44:45], v[0:1], s[28:29], -v[4:5]
	v_fma_f64 v[46:47], v[2:3], s[28:29], v[6:7]
	v_add_f64 v[8:9], v[8:9], v[16:17]
	v_add_f64 v[10:11], v[10:11], v[18:19]
	v_fma_f64 v[4:5], v[0:1], s[28:29], v[4:5]
	v_fma_f64 v[6:7], v[2:3], s[28:29], -v[6:7]
	v_fma_f64 v[16:17], v[0:1], s[8:9], -v[52:53]
	v_fma_f64 v[18:19], v[2:3], s[8:9], v[54:55]
	v_add_f64 v[66:67], v[82:83], v[66:67]
	v_add_f64 v[92:93], v[48:49], v[56:57]
	;; [unrolled: 1-line block ×5, first 2 shown]
	v_mul_f64 v[36:37], v[86:87], s[22:23]
	v_mul_f64 v[38:39], v[88:89], s[22:23]
	v_add_f64 v[80:81], v[4:5], v[12:13]
	v_add_f64 v[82:83], v[6:7], v[14:15]
	;; [unrolled: 1-line block ×4, first 2 shown]
	v_fma_f64 v[4:5], v[0:1], s[8:9], v[52:53]
	v_fma_f64 v[6:7], v[2:3], s[8:9], -v[54:55]
	v_mul_f64 v[16:17], v[86:87], s[34:35]
	v_mul_f64 v[18:19], v[88:89], s[34:35]
	v_fma_f64 v[12:13], v[0:1], s[20:21], -v[36:37]
	v_fma_f64 v[14:15], v[2:3], s[20:21], v[38:39]
	v_fma_f64 v[36:37], v[0:1], s[20:21], v[36:37]
	v_fma_f64 v[38:39], v[2:3], s[20:21], -v[38:39]
	v_add_f64 v[76:77], v[4:5], v[20:21]
	v_add_f64 v[78:79], v[6:7], v[22:23]
	v_fma_f64 v[4:5], v[0:1], s[6:7], -v[16:17]
	v_fma_f64 v[6:7], v[2:3], s[6:7], v[18:19]
	v_add_f64 v[52:53], v[12:13], v[24:25]
	v_add_f64 v[54:55], v[14:15], v[26:27]
	v_fma_f64 v[12:13], v[0:1], s[6:7], v[16:17]
	v_fma_f64 v[14:15], v[2:3], s[6:7], -v[18:19]
	v_mul_f64 v[16:17], v[86:87], s[18:19]
	v_mul_f64 v[18:19], v[88:89], s[18:19]
	v_add_f64 v[56:57], v[4:5], v[32:33]
	v_add_f64 v[58:59], v[6:7], v[34:35]
	v_mul_f64 v[4:5], v[86:87], s[30:31]
	v_mul_f64 v[6:7], v[88:89], s[30:31]
	v_add_f64 v[88:89], v[12:13], v[84:85]
	v_add_f64 v[90:91], v[14:15], v[66:67]
	v_fma_f64 v[12:13], v[0:1], s[10:11], -v[16:17]
	v_fma_f64 v[14:15], v[2:3], s[10:11], v[18:19]
	v_fma_f64 v[16:17], v[0:1], s[10:11], v[16:17]
	v_fma_f64 v[18:19], v[2:3], s[10:11], -v[18:19]
	v_fma_f64 v[20:21], v[0:1], s[2:3], -v[4:5]
	v_fma_f64 v[22:23], v[2:3], s[2:3], v[6:7]
	v_fma_f64 v[0:1], v[0:1], s[2:3], v[4:5]
	v_fma_f64 v[2:3], v[2:3], s[2:3], -v[6:7]
	v_add_f64 v[72:73], v[36:37], v[28:29]
	v_add_f64 v[74:75], v[38:39], v[30:31]
	;; [unrolled: 1-line block ×10, first 2 shown]
	s_load_dwordx2 s[8:9], s[4:5], 0x8
	v_mul_lo_u16_e32 v201, 13, v198
	s_waitcnt lgkmcnt(0)
	s_barrier
	s_and_saveexec_b64 s[2:3], s[0:1]
	s_cbranch_execz .LBB0_7
; %bb.6:
	v_lshlrev_b32_e32 v0, 4, v201
	ds_write_b128 v0, v[40:43]
	ds_write_b128 v0, v[44:47] offset:16
	ds_write_b128 v0, v[48:51] offset:32
	;; [unrolled: 1-line block ×12, first 2 shown]
.LBB0_7:
	s_or_b64 exec, exec, s[2:3]
	s_load_dwordx2 s[4:5], s[4:5], 0x20
	s_movk_i32 s2, 0x82
	v_cmp_gt_u16_e64 s[2:3], s2, v198
	s_waitcnt lgkmcnt(0)
	s_barrier
	s_and_saveexec_b64 s[6:7], s[2:3]
	s_cbranch_execz .LBB0_9
; %bb.8:
	ds_read_b128 v[40:43], v197
	ds_read_b128 v[44:47], v197 offset:2080
	ds_read_b128 v[48:51], v197 offset:4160
	;; [unrolled: 1-line block ×10, first 2 shown]
.LBB0_9:
	s_or_b64 exec, exec, s[6:7]
	s_movk_i32 s6, 0x4f
	v_mul_lo_u16_sdwa v0, v198, s6 dst_sel:DWORD dst_unused:UNUSED_PAD src0_sel:BYTE_0 src1_sel:DWORD
	v_lshrrev_b16_e32 v199, 10, v0
	v_mul_lo_u16_e32 v0, 13, v199
	v_sub_u16_e32 v0, v198, v0
	v_and_b32_e32 v200, 0xff, v0
	v_mul_u32_u24_e32 v0, 10, v200
	v_lshlrev_b32_e32 v92, 4, v0
	global_load_dwordx4 v[4:7], v92, s[8:9]
	global_load_dwordx4 v[0:3], v92, s[8:9] offset:16
	global_load_dwordx4 v[8:11], v92, s[8:9] offset:32
	;; [unrolled: 1-line block ×9, first 2 shown]
	s_mov_b32 s20, 0xf8bb580b
	s_mov_b32 s21, 0xbfe14ced
	;; [unrolled: 1-line block ×20, first 2 shown]
	s_waitcnt vmcnt(0) lgkmcnt(0)
	s_barrier
	v_mul_f64 v[92:93], v[46:47], v[6:7]
	v_mul_f64 v[94:95], v[44:45], v[6:7]
	;; [unrolled: 1-line block ×10, first 2 shown]
	v_fma_f64 v[108:109], v[44:45], v[4:5], -v[92:93]
	v_fma_f64 v[124:125], v[46:47], v[4:5], v[94:95]
	v_mul_f64 v[106:107], v[58:59], v[14:15]
	v_mul_f64 v[112:113], v[62:63], v[30:31]
	v_fma_f64 v[44:45], v[74:75], v[16:17], v[98:99]
	v_fma_f64 v[46:47], v[72:73], v[16:17], -v[126:127]
	v_mul_f64 v[120:121], v[70:71], v[38:39]
	v_mul_f64 v[131:132], v[86:87], v[34:35]
	;; [unrolled: 1-line block ×3, first 2 shown]
	v_fma_f64 v[98:99], v[48:49], v[0:1], -v[96:97]
	v_fma_f64 v[100:101], v[50:51], v[0:1], v[100:101]
	v_fma_f64 v[48:49], v[90:91], v[20:21], v[129:130]
	v_fma_f64 v[50:51], v[88:89], v[20:21], -v[135:136]
	v_add_f64 v[145:146], v[124:125], -v[44:45]
	v_add_f64 v[143:144], v[108:109], -v[46:47]
	v_mul_f64 v[110:111], v[56:57], v[14:15]
	v_mul_f64 v[122:123], v[68:69], v[38:39]
	v_fma_f64 v[94:95], v[52:53], v[8:9], -v[102:103]
	v_fma_f64 v[96:97], v[54:55], v[8:9], v[104:105]
	v_fma_f64 v[90:91], v[56:57], v[12:13], -v[106:107]
	v_fma_f64 v[72:73], v[60:61], v[28:29], -v[112:113]
	v_fma_f64 v[52:53], v[86:87], v[32:33], v[133:134]
	v_fma_f64 v[54:55], v[84:85], v[32:33], -v[131:132]
	v_fma_f64 v[56:57], v[68:69], v[36:37], -v[120:121]
	v_add_f64 v[68:69], v[108:109], v[46:47]
	v_add_f64 v[135:136], v[100:101], -v[48:49]
	v_add_f64 v[151:152], v[124:125], v[44:45]
	v_add_f64 v[137:138], v[98:99], -v[50:51]
	v_mul_f64 v[102:103], v[145:146], s[20:21]
	v_mul_f64 v[112:113], v[143:144], s[20:21]
	;; [unrolled: 1-line block ×5, first 2 shown]
	v_fma_f64 v[92:93], v[58:59], v[12:13], v[110:111]
	v_fma_f64 v[58:59], v[70:71], v[36:37], v[122:123]
	v_add_f64 v[70:71], v[98:99], v[50:51]
	v_add_f64 v[149:150], v[100:101], v[48:49]
	v_add_f64 v[131:132], v[96:97], -v[52:53]
	v_add_f64 v[129:130], v[94:95], -v[54:55]
	v_mul_f64 v[104:105], v[135:136], s[16:17]
	v_mul_f64 v[110:111], v[137:138], s[16:17]
	v_fma_f64 v[84:85], v[68:69], s[6:7], v[102:103]
	v_fma_f64 v[86:87], v[151:152], s[6:7], -v[112:113]
	v_fma_f64 v[74:75], v[62:63], v[28:29], v[114:115]
	v_fma_f64 v[60:61], v[64:65], v[24:25], -v[116:117]
	v_fma_f64 v[62:63], v[66:67], v[24:25], v[118:119]
	v_add_f64 v[66:67], v[94:95], v[54:55]
	v_add_f64 v[147:148], v[96:97], v[52:53]
	v_add_f64 v[126:127], v[92:93], -v[58:59]
	v_add_f64 v[133:134], v[90:91], -v[56:57]
	v_mul_f64 v[88:89], v[131:132], s[30:31]
	v_mul_f64 v[106:107], v[129:130], s[30:31]
	v_fma_f64 v[114:115], v[70:71], s[10:11], v[104:105]
	v_fma_f64 v[118:119], v[149:150], s[10:11], -v[110:111]
	v_add_f64 v[84:85], v[40:41], v[84:85]
	v_add_f64 v[86:87], v[42:43], v[86:87]
	;; [unrolled: 1-line block ×4, first 2 shown]
	v_add_f64 v[139:140], v[74:75], -v[62:63]
	v_add_f64 v[141:142], v[72:73], -v[60:61]
	v_mul_f64 v[116:117], v[126:127], s[26:27]
	v_mul_f64 v[120:121], v[133:134], s[26:27]
	v_fma_f64 v[157:158], v[66:67], s[18:19], v[88:89]
	v_fma_f64 v[159:160], v[147:148], s[18:19], -v[106:107]
	v_add_f64 v[84:85], v[114:115], v[84:85]
	v_add_f64 v[86:87], v[118:119], v[86:87]
	;; [unrolled: 1-line block ×4, first 2 shown]
	v_mul_f64 v[118:119], v[139:140], s[28:29]
	v_mul_f64 v[122:123], v[141:142], s[28:29]
	v_fma_f64 v[161:162], v[64:65], s[22:23], v[116:117]
	v_fma_f64 v[163:164], v[153:154], s[22:23], -v[120:121]
	v_add_f64 v[84:85], v[157:158], v[84:85]
	v_add_f64 v[86:87], v[159:160], v[86:87]
	v_fma_f64 v[157:158], v[114:115], s[34:35], v[118:119]
	v_fma_f64 v[159:160], v[155:156], s[34:35], -v[122:123]
	v_add_f64 v[84:85], v[161:162], v[84:85]
	v_add_f64 v[86:87], v[163:164], v[86:87]
	;; [unrolled: 1-line block ×4, first 2 shown]
	s_and_saveexec_b64 s[24:25], s[2:3]
	s_cbranch_execz .LBB0_11
; %bb.10:
	v_mul_f64 v[157:158], v[151:152], s[34:35]
	s_mov_b32 s39, 0x3fd207e7
	s_mov_b32 s38, s28
	v_mul_f64 v[161:162], v[149:150], s[6:7]
	v_mul_f64 v[167:168], v[145:146], s[28:29]
	s_mov_b32 s41, 0x3fe14ced
	s_mov_b32 s40, s20
	v_mul_f64 v[171:172], v[147:148], s[22:23]
	v_fma_f64 v[163:164], v[143:144], s[38:39], v[157:158]
	v_mul_f64 v[175:176], v[135:136], s[40:41]
	v_fma_f64 v[157:158], v[143:144], s[28:29], v[157:158]
	v_fma_f64 v[173:174], v[137:138], s[20:21], v[161:162]
	;; [unrolled: 1-line block ×3, first 2 shown]
	s_mov_b32 s43, 0x3fe82f19
	s_mov_b32 s42, s26
	v_mul_f64 v[159:160], v[153:154], s[10:11]
	v_add_f64 v[163:164], v[42:43], v[163:164]
	v_fma_f64 v[195:196], v[129:130], s[42:43], v[171:172]
	v_fma_f64 v[202:203], v[70:71], s[6:7], v[175:176]
	;; [unrolled: 1-line block ×3, first 2 shown]
	v_add_f64 v[193:194], v[40:41], v[193:194]
	v_add_f64 v[157:158], v[42:43], v[157:158]
	v_fma_f64 v[167:168], v[68:69], s[34:35], -v[167:168]
	s_mov_b32 s45, 0x3fed1bb4
	v_add_f64 v[163:164], v[173:174], v[163:164]
	v_mul_f64 v[173:174], v[131:132], s[26:27]
	s_mov_b32 s44, s16
	v_mul_f64 v[165:166], v[155:156], s[18:19]
	v_fma_f64 v[169:170], v[133:134], s[16:17], v[159:160]
	v_mul_f64 v[204:205], v[126:127], s[44:45]
	v_add_f64 v[193:194], v[202:203], v[193:194]
	v_fma_f64 v[171:172], v[129:130], s[26:27], v[171:172]
	v_add_f64 v[157:158], v[161:162], v[157:158]
	v_fma_f64 v[206:207], v[66:67], s[22:23], v[173:174]
	v_add_f64 v[161:162], v[195:196], v[163:164]
	v_fma_f64 v[175:176], v[70:71], s[6:7], -v[175:176]
	v_add_f64 v[167:168], v[40:41], v[167:168]
	s_mov_b32 s37, 0x3fefac9e
	s_mov_b32 s36, s30
	v_mul_f64 v[195:196], v[139:140], s[30:31]
	v_fma_f64 v[163:164], v[64:65], s[10:11], v[204:205]
	v_add_f64 v[193:194], v[206:207], v[193:194]
	v_fma_f64 v[159:160], v[133:134], s[44:45], v[159:160]
	v_add_f64 v[157:158], v[171:172], v[157:158]
	;; [unrolled: 2-line block ×3, first 2 shown]
	v_fma_f64 v[173:174], v[66:67], s[22:23], -v[173:174]
	v_add_f64 v[167:168], v[175:176], v[167:168]
	v_fma_f64 v[169:170], v[114:115], s[18:19], v[195:196]
	v_add_f64 v[163:164], v[163:164], v[193:194]
	v_fma_f64 v[165:166], v[141:142], s[30:31], v[165:166]
	v_add_f64 v[175:176], v[159:160], v[157:158]
	v_mul_f64 v[208:209], v[135:136], s[36:37]
	v_add_f64 v[159:160], v[171:172], v[161:162]
	v_fma_f64 v[161:162], v[64:65], s[10:11], -v[204:205]
	v_add_f64 v[167:168], v[173:174], v[167:168]
	v_mul_f64 v[171:172], v[151:152], s[22:23]
	v_mul_f64 v[173:174], v[145:146], s[26:27]
	v_add_f64 v[157:158], v[169:170], v[163:164]
	v_add_f64 v[163:164], v[165:166], v[175:176]
	v_mul_f64 v[175:176], v[149:150], s[18:19]
	v_fma_f64 v[169:170], v[114:115], s[18:19], -v[195:196]
	v_mul_f64 v[195:196], v[147:148], s[6:7]
	v_add_f64 v[161:162], v[161:162], v[167:168]
	v_fma_f64 v[167:168], v[143:144], s[42:43], v[171:172]
	v_fma_f64 v[210:211], v[68:69], s[22:23], v[173:174]
	;; [unrolled: 1-line block ×3, first 2 shown]
	v_fma_f64 v[173:174], v[68:69], s[22:23], -v[173:174]
	v_fma_f64 v[212:213], v[137:138], s[30:31], v[175:176]
	v_mul_f64 v[216:217], v[131:132], s[20:21]
	v_fma_f64 v[218:219], v[70:71], s[18:19], v[208:209]
	v_fma_f64 v[175:176], v[137:138], s[36:37], v[175:176]
	v_add_f64 v[167:168], v[42:43], v[167:168]
	v_add_f64 v[210:211], v[40:41], v[210:211]
	v_add_f64 v[171:172], v[42:43], v[171:172]
	v_mul_f64 v[165:166], v[153:154], s[34:35]
	v_fma_f64 v[214:215], v[129:130], s[40:41], v[195:196]
	v_fma_f64 v[208:209], v[70:71], s[18:19], -v[208:209]
	v_add_f64 v[173:174], v[40:41], v[173:174]
	v_fma_f64 v[220:221], v[66:67], s[6:7], v[216:217]
	v_add_f64 v[167:168], v[212:213], v[167:168]
	v_mul_f64 v[212:213], v[126:127], s[28:29]
	v_add_f64 v[210:211], v[218:219], v[210:211]
	v_fma_f64 v[195:196], v[129:130], s[20:21], v[195:196]
	v_add_f64 v[171:172], v[175:176], v[171:172]
	v_mul_f64 v[204:205], v[155:156], s[10:11]
	v_fma_f64 v[206:207], v[133:134], s[38:39], v[165:166]
	v_fma_f64 v[175:176], v[66:67], s[6:7], -v[216:217]
	v_add_f64 v[167:168], v[214:215], v[167:168]
	v_add_f64 v[173:174], v[208:209], v[173:174]
	v_fma_f64 v[214:215], v[64:65], s[34:35], v[212:213]
	v_add_f64 v[210:211], v[220:221], v[210:211]
	v_fma_f64 v[165:166], v[133:134], s[28:29], v[165:166]
	v_add_f64 v[171:172], v[195:196], v[171:172]
	v_mul_f64 v[208:209], v[139:140], s[44:45]
	v_fma_f64 v[195:196], v[141:142], s[16:17], v[204:205]
	v_fma_f64 v[212:213], v[64:65], s[34:35], -v[212:213]
	v_add_f64 v[173:174], v[175:176], v[173:174]
	v_add_f64 v[167:168], v[206:207], v[167:168]
	;; [unrolled: 1-line block ×3, first 2 shown]
	v_fma_f64 v[204:205], v[141:142], s[44:45], v[204:205]
	v_add_f64 v[171:172], v[165:166], v[171:172]
	v_mul_f64 v[210:211], v[151:152], s[18:19]
	v_fma_f64 v[175:176], v[114:115], s[10:11], v[208:209]
	v_fma_f64 v[208:209], v[114:115], s[10:11], -v[208:209]
	v_add_f64 v[173:174], v[212:213], v[173:174]
	v_add_f64 v[167:168], v[195:196], v[167:168]
	v_mul_f64 v[195:196], v[149:150], s[34:35]
	v_add_f64 v[124:125], v[42:43], v[124:125]
	v_add_f64 v[171:172], v[204:205], v[171:172]
	v_fma_f64 v[204:205], v[143:144], s[36:37], v[210:211]
	v_fma_f64 v[210:211], v[143:144], s[30:31], v[210:211]
	v_add_f64 v[165:166], v[175:176], v[206:207]
	v_mul_f64 v[175:176], v[145:146], s[30:31]
	v_add_f64 v[108:109], v[40:41], v[108:109]
	v_add_f64 v[161:162], v[169:170], v[161:162]
	;; [unrolled: 1-line block ×3, first 2 shown]
	v_mul_f64 v[173:174], v[147:148], s[10:11]
	v_fma_f64 v[214:215], v[137:138], s[28:29], v[195:196]
	v_add_f64 v[204:205], v[42:43], v[204:205]
	v_fma_f64 v[195:196], v[137:138], s[38:39], v[195:196]
	v_add_f64 v[210:211], v[42:43], v[210:211]
	v_mul_f64 v[208:209], v[135:136], s[38:39]
	v_fma_f64 v[212:213], v[68:69], s[18:19], v[175:176]
	v_add_f64 v[100:101], v[124:125], v[100:101]
	v_add_f64 v[98:99], v[108:109], v[98:99]
	v_mul_f64 v[216:217], v[153:154], s[6:7]
	v_fma_f64 v[218:219], v[129:130], s[16:17], v[173:174]
	v_add_f64 v[204:205], v[214:215], v[204:205]
	v_fma_f64 v[175:176], v[68:69], s[18:19], -v[175:176]
	v_fma_f64 v[173:174], v[129:130], s[44:45], v[173:174]
	v_add_f64 v[195:196], v[195:196], v[210:211]
	v_mul_f64 v[220:221], v[131:132], s[44:45]
	v_fma_f64 v[222:223], v[70:71], s[34:35], v[208:209]
	v_add_f64 v[212:213], v[40:41], v[212:213]
	v_add_f64 v[96:97], v[100:101], v[96:97]
	;; [unrolled: 1-line block ×3, first 2 shown]
	v_mul_f64 v[206:207], v[155:156], s[22:23]
	v_fma_f64 v[214:215], v[133:134], s[40:41], v[216:217]
	v_add_f64 v[204:205], v[218:219], v[204:205]
	v_fma_f64 v[208:209], v[70:71], s[34:35], -v[208:209]
	v_add_f64 v[175:176], v[40:41], v[175:176]
	v_fma_f64 v[216:217], v[133:134], s[20:21], v[216:217]
	v_add_f64 v[173:174], v[173:174], v[195:196]
	v_mul_f64 v[224:225], v[126:127], s[20:21]
	v_fma_f64 v[226:227], v[66:67], s[10:11], v[220:221]
	v_add_f64 v[212:213], v[222:223], v[212:213]
	v_add_f64 v[92:93], v[96:97], v[92:93]
	v_add_f64 v[90:91], v[94:95], v[90:91]
	v_mul_f64 v[177:178], v[68:69], s[6:7]
	v_mul_f64 v[179:180], v[151:152], s[6:7]
	v_fma_f64 v[195:196], v[141:142], s[42:43], v[206:207]
	v_add_f64 v[204:205], v[214:215], v[204:205]
	v_fma_f64 v[214:215], v[66:67], s[10:11], -v[220:221]
	v_add_f64 v[208:209], v[208:209], v[175:176]
	v_fma_f64 v[206:207], v[141:142], s[26:27], v[206:207]
	v_add_f64 v[216:217], v[216:217], v[173:174]
	v_mul_f64 v[151:152], v[151:152], s[10:11]
	v_mul_f64 v[210:211], v[139:140], s[26:27]
	v_fma_f64 v[218:219], v[64:65], s[6:7], v[224:225]
	v_add_f64 v[212:213], v[226:227], v[212:213]
	v_mul_f64 v[145:146], v[145:146], s[16:17]
	v_add_f64 v[74:75], v[92:93], v[74:75]
	v_add_f64 v[72:73], v[90:91], v[72:73]
	v_mul_f64 v[181:182], v[70:71], s[10:11]
	v_mul_f64 v[183:184], v[149:150], s[10:11]
	v_add_f64 v[175:176], v[195:196], v[204:205]
	v_add_f64 v[204:205], v[214:215], v[208:209]
	v_mul_f64 v[208:209], v[149:150], s[22:23]
	v_add_f64 v[149:150], v[206:207], v[216:217]
	v_fma_f64 v[206:207], v[143:144], s[44:45], v[151:152]
	v_fma_f64 v[143:144], v[143:144], s[16:17], v[151:152]
	v_add_f64 v[112:113], v[112:113], v[179:180]
	v_add_f64 v[90:91], v[177:178], -v[102:103]
	v_fma_f64 v[220:221], v[114:115], s[22:23], v[210:211]
	v_add_f64 v[212:213], v[218:219], v[212:213]
	v_mul_f64 v[135:136], v[135:136], s[26:27]
	v_fma_f64 v[216:217], v[68:69], s[10:11], v[145:146]
	v_fma_f64 v[68:69], v[68:69], s[10:11], -v[145:146]
	v_add_f64 v[62:63], v[74:75], v[62:63]
	v_add_f64 v[60:61], v[72:73], v[60:61]
	v_mul_f64 v[185:186], v[66:67], s[18:19]
	v_mul_f64 v[187:188], v[147:148], s[18:19]
	v_add_f64 v[206:207], v[42:43], v[206:207]
	v_add_f64 v[143:144], v[42:43], v[143:144]
	;; [unrolled: 1-line block ×4, first 2 shown]
	v_add_f64 v[102:103], v[181:182], -v[104:105]
	v_add_f64 v[72:73], v[40:41], v[90:91]
	v_add_f64 v[173:174], v[220:221], v[212:213]
	v_mul_f64 v[147:148], v[147:148], s[34:35]
	v_fma_f64 v[212:213], v[137:138], s[42:43], v[208:209]
	v_fma_f64 v[137:138], v[137:138], s[26:27], v[208:209]
	v_mul_f64 v[108:109], v[131:132], s[38:39]
	v_fma_f64 v[124:125], v[70:71], s[22:23], v[135:136]
	v_add_f64 v[131:132], v[40:41], v[216:217]
	v_fma_f64 v[70:71], v[70:71], s[22:23], -v[135:136]
	v_add_f64 v[40:41], v[40:41], v[68:69]
	v_add_f64 v[58:59], v[62:63], v[58:59]
	;; [unrolled: 1-line block ×3, first 2 shown]
	v_mul_f64 v[189:190], v[64:65], s[22:23]
	v_mul_f64 v[191:192], v[153:154], s[22:23]
	;; [unrolled: 1-line block ×3, first 2 shown]
	v_add_f64 v[68:69], v[106:107], v[187:188]
	v_add_f64 v[42:43], v[92:93], v[42:43]
	v_add_f64 v[74:75], v[185:186], -v[88:89]
	v_add_f64 v[60:61], v[102:103], v[72:73]
	v_mul_f64 v[153:154], v[153:154], s[18:19]
	v_fma_f64 v[151:152], v[129:130], s[28:29], v[147:148]
	v_fma_f64 v[129:130], v[129:130], s[38:39], v[147:148]
	v_add_f64 v[137:138], v[137:138], v[143:144]
	v_fma_f64 v[100:101], v[66:67], s[34:35], v[108:109]
	v_fma_f64 v[66:67], v[66:67], s[34:35], -v[108:109]
	v_add_f64 v[40:41], v[70:71], v[40:41]
	v_add_f64 v[206:207], v[212:213], v[206:207]
	;; [unrolled: 1-line block ×5, first 2 shown]
	v_mul_f64 v[193:194], v[114:115], s[34:35]
	v_mul_f64 v[202:203], v[155:156], s[34:35]
	v_fma_f64 v[195:196], v[64:65], s[6:7], -v[224:225]
	v_fma_f64 v[96:97], v[64:65], s[18:19], v[98:99]
	v_fma_f64 v[62:63], v[64:65], s[18:19], -v[98:99]
	v_add_f64 v[64:65], v[120:121], v[191:192]
	v_add_f64 v[42:43], v[68:69], v[42:43]
	v_add_f64 v[68:69], v[189:190], -v[116:117]
	v_add_f64 v[56:57], v[74:75], v[60:61]
	v_mul_f64 v[155:156], v[155:156], s[6:7]
	v_fma_f64 v[131:132], v[133:134], s[36:37], v[153:154]
	v_add_f64 v[129:130], v[129:130], v[137:138]
	v_mul_f64 v[94:95], v[139:140], s[40:41]
	v_add_f64 v[40:41], v[66:67], v[40:41]
	v_fma_f64 v[214:215], v[133:134], s[30:31], v[153:154]
	v_add_f64 v[151:152], v[151:152], v[206:207]
	v_add_f64 v[100:101], v[100:101], v[124:125]
	v_add_f64 v[52:53], v[52:53], v[48:49]
	v_add_f64 v[50:51], v[54:55], v[50:51]
	v_add_f64 v[60:61], v[122:123], v[202:203]
	v_add_f64 v[64:65], v[64:65], v[42:43]
	v_add_f64 v[66:67], v[193:194], -v[118:119]
	v_add_f64 v[54:55], v[68:69], v[56:57]
	v_fma_f64 v[124:125], v[141:142], s[40:41], v[155:156]
	v_add_f64 v[129:130], v[131:132], v[129:130]
	v_fma_f64 v[58:59], v[114:115], s[6:7], -v[94:95]
	v_add_f64 v[40:41], v[62:63], v[40:41]
	v_fma_f64 v[210:211], v[114:115], s[22:23], -v[210:211]
	v_add_f64 v[195:196], v[195:196], v[204:205]
	v_fma_f64 v[204:205], v[141:142], s[20:21], v[155:156]
	v_add_f64 v[126:127], v[214:215], v[151:152]
	v_fma_f64 v[62:63], v[114:115], s[6:7], v[94:95]
	v_add_f64 v[68:69], v[96:97], v[100:101]
	v_add_f64 v[52:53], v[52:53], v[44:45]
	;; [unrolled: 1-line block ×8, first 2 shown]
	v_mul_u32_u24_e32 v44, 0x8f, v199
	v_add_lshl_u32 v44, v44, v200, 4
	v_add_f64 v[56:57], v[204:205], v[126:127]
	v_add_f64 v[54:55], v[62:63], v[68:69]
	ds_write_b128 v44, v[50:53]
	ds_write_b128 v44, v[46:49] offset:208
	ds_write_b128 v44, v[40:43] offset:416
	;; [unrolled: 1-line block ×10, first 2 shown]
.LBB0_11:
	s_or_b64 exec, exec, s[24:25]
	v_mov_b32_e32 v41, s9
	s_movk_i32 s10, 0x90
	v_mov_b32_e32 v40, s8
	v_mad_u64_u32 v[88:89], s[8:9], v198, s10, v[40:41]
	s_load_dwordx4 s[4:7], s[4:5], 0x0
	s_waitcnt lgkmcnt(0)
	s_barrier
	global_load_dwordx4 v[56:59], v[88:89], off offset:2080
	global_load_dwordx4 v[48:51], v[88:89], off offset:2096
	global_load_dwordx4 v[44:47], v[88:89], off offset:2112
	global_load_dwordx4 v[40:43], v[88:89], off offset:2128
	global_load_dwordx4 v[68:71], v[88:89], off offset:2144
	global_load_dwordx4 v[60:63], v[88:89], off offset:2160
	global_load_dwordx4 v[52:55], v[88:89], off offset:2176
	global_load_dwordx4 v[64:67], v[88:89], off offset:2192
	global_load_dwordx4 v[72:75], v[88:89], off offset:2208
	ds_read_b128 v[88:91], v197
	ds_read_b128 v[92:95], v197 offset:2288
	ds_read_b128 v[96:99], v197 offset:4576
	;; [unrolled: 1-line block ×9, first 2 shown]
	s_mov_b32 s8, 0x134454ff
	s_mov_b32 s9, 0x3fee6f0e
	;; [unrolled: 1-line block ×12, first 2 shown]
	s_waitcnt vmcnt(8) lgkmcnt(8)
	v_mul_f64 v[129:130], v[94:95], v[58:59]
	s_waitcnt vmcnt(7) lgkmcnt(7)
	v_mul_f64 v[133:134], v[98:99], v[50:51]
	v_mul_f64 v[135:136], v[96:97], v[50:51]
	s_waitcnt vmcnt(5) lgkmcnt(5)
	v_mul_f64 v[141:142], v[106:107], v[42:43]
	;; [unrolled: 3-line block ×4, first 2 shown]
	v_mul_f64 v[131:132], v[92:93], v[58:59]
	v_mul_f64 v[137:138], v[102:103], v[46:47]
	v_mul_f64 v[139:140], v[100:101], v[46:47]
	v_mul_f64 v[145:146], v[110:111], v[70:71]
	v_mul_f64 v[147:148], v[108:109], v[70:71]
	v_mul_f64 v[153:154], v[118:119], v[54:55]
	v_mul_f64 v[159:160], v[120:121], v[66:67]
	v_fma_f64 v[96:97], v[96:97], v[48:49], -v[133:134]
	v_fma_f64 v[98:99], v[98:99], v[48:49], v[135:136]
	v_fma_f64 v[104:105], v[104:105], v[40:41], -v[141:142]
	v_fma_f64 v[106:107], v[106:107], v[40:41], v[143:144]
	;; [unrolled: 2-line block ×3, first 2 shown]
	v_fma_f64 v[120:121], v[120:121], v[64:65], -v[157:158]
	v_mul_f64 v[155:156], v[116:117], v[54:55]
	s_waitcnt vmcnt(0) lgkmcnt(0)
	v_mul_f64 v[163:164], v[124:125], v[74:75]
	v_fma_f64 v[92:93], v[92:93], v[56:57], -v[129:130]
	v_fma_f64 v[94:95], v[94:95], v[56:57], v[131:132]
	v_fma_f64 v[100:101], v[100:101], v[44:45], -v[137:138]
	v_fma_f64 v[102:103], v[102:103], v[44:45], v[139:140]
	;; [unrolled: 2-line block ×3, first 2 shown]
	v_fma_f64 v[122:123], v[122:123], v[64:65], v[159:160]
	v_fma_f64 v[116:117], v[116:117], v[52:53], -v[153:154]
	v_add_f64 v[129:130], v[88:89], v[96:97]
	v_add_f64 v[131:132], v[104:105], v[112:113]
	v_add_f64 v[137:138], v[96:97], -v[104:105]
	v_add_f64 v[139:140], v[120:121], -v[112:113]
	v_add_f64 v[141:142], v[96:97], v[120:121]
	v_add_f64 v[147:148], v[90:91], v[98:99]
	;; [unrolled: 1-line block ×3, first 2 shown]
	v_mul_f64 v[161:162], v[126:127], v[74:75]
	v_fma_f64 v[126:127], v[126:127], v[72:73], v[163:164]
	v_add_f64 v[133:134], v[98:99], -v[122:123]
	v_add_f64 v[135:136], v[106:107], -v[114:115]
	;; [unrolled: 1-line block ×7, first 2 shown]
	v_add_f64 v[157:158], v[98:99], v[122:123]
	v_add_f64 v[98:99], v[106:107], -v[98:99]
	v_add_f64 v[163:164], v[108:109], v[116:117]
	v_add_f64 v[104:105], v[129:130], v[104:105]
	v_fma_f64 v[129:130], v[131:132], -0.5, v[88:89]
	v_add_f64 v[131:132], v[137:138], v[139:140]
	v_fma_f64 v[88:89], v[141:142], -0.5, v[88:89]
	;; [unrolled: 2-line block ×3, first 2 shown]
	v_fma_f64 v[118:119], v[118:119], v[52:53], v[155:156]
	v_fma_f64 v[124:125], v[124:125], v[72:73], -v[161:162]
	v_add_f64 v[155:156], v[122:123], -v[114:115]
	v_add_f64 v[159:160], v[114:115], -v[122:123]
	;; [unrolled: 1-line block ×3, first 2 shown]
	v_add_f64 v[137:138], v[143:144], v[145:146]
	v_fma_f64 v[90:91], v[157:158], -0.5, v[90:91]
	v_fma_f64 v[145:146], v[163:164], -0.5, v[92:93]
	v_add_f64 v[104:105], v[104:105], v[112:113]
	v_fma_f64 v[112:113], v[133:134], s[8:9], v[129:130]
	v_fma_f64 v[129:130], v[133:134], s[18:19], v[129:130]
	;; [unrolled: 1-line block ×4, first 2 shown]
	v_add_f64 v[106:107], v[106:107], v[114:115]
	v_fma_f64 v[114:115], v[96:97], s[18:19], v[139:140]
	v_fma_f64 v[139:140], v[96:97], s[8:9], v[139:140]
	v_add_f64 v[161:162], v[92:93], v[100:101]
	v_add_f64 v[167:168], v[110:111], -v[118:119]
	v_add_f64 v[169:170], v[100:101], -v[108:109]
	v_add_f64 v[171:172], v[124:125], -v[116:117]
	v_add_f64 v[141:142], v[153:154], v[155:156]
	v_fma_f64 v[149:150], v[151:152], s[8:9], v[90:91]
	v_fma_f64 v[90:91], v[151:152], s[18:19], v[90:91]
	;; [unrolled: 1-line block ×3, first 2 shown]
	v_add_f64 v[104:105], v[104:105], v[120:121]
	v_fma_f64 v[112:113], v[135:136], s[10:11], v[112:113]
	v_fma_f64 v[120:121], v[135:136], s[20:21], v[129:130]
	;; [unrolled: 1-line block ×4, first 2 shown]
	v_add_f64 v[106:107], v[106:107], v[122:123]
	v_fma_f64 v[122:123], v[151:152], s[10:11], v[139:140]
	v_add_f64 v[143:144], v[161:162], v[108:109]
	v_fma_f64 v[133:134], v[96:97], s[20:21], v[149:150]
	v_fma_f64 v[112:113], v[131:132], s[16:17], v[112:113]
	;; [unrolled: 1-line block ×5, first 2 shown]
	v_add_f64 v[88:89], v[98:99], v[159:160]
	v_fma_f64 v[137:138], v[141:142], s[16:17], v[122:123]
	v_fma_f64 v[90:91], v[96:97], s[10:11], v[90:91]
	v_fma_f64 v[98:99], v[167:168], s[10:11], v[153:154]
	v_add_f64 v[120:121], v[169:170], v[171:172]
	v_add_f64 v[122:123], v[110:111], v[118:119]
	;; [unrolled: 1-line block ×4, first 2 shown]
	v_fma_f64 v[133:134], v[88:89], s[16:17], v[133:134]
	v_fma_f64 v[114:115], v[151:152], s[20:21], v[114:115]
	;; [unrolled: 1-line block ×3, first 2 shown]
	v_add_f64 v[88:89], v[102:103], v[126:127]
	v_fma_f64 v[90:91], v[120:121], s[16:17], v[98:99]
	v_fma_f64 v[98:99], v[122:123], -0.5, v[94:95]
	v_add_f64 v[122:123], v[100:101], -v[124:125]
	v_fma_f64 v[92:93], v[173:174], -0.5, v[92:93]
	v_fma_f64 v[139:140], v[165:166], s[18:19], v[145:146]
	v_add_f64 v[96:97], v[96:97], v[124:125]
	v_add_f64 v[145:146], v[94:95], v[102:103]
	v_add_f64 v[147:148], v[108:109], -v[116:117]
	v_fma_f64 v[88:89], v[88:89], -0.5, v[94:95]
	v_add_f64 v[94:95], v[108:109], -v[100:101]
	v_add_f64 v[100:101], v[116:117], -v[124:125]
	v_fma_f64 v[108:109], v[122:123], s[18:19], v[98:99]
	v_add_f64 v[116:117], v[102:103], -v[110:111]
	v_add_f64 v[124:125], v[126:127], -v[118:119]
	v_fma_f64 v[114:115], v[141:142], s[16:17], v[114:115]
	v_fma_f64 v[141:142], v[167:168], s[18:19], v[92:93]
	;; [unrolled: 1-line block ×3, first 2 shown]
	v_add_f64 v[145:146], v[145:146], v[110:111]
	v_fma_f64 v[149:150], v[147:148], s[8:9], v[88:89]
	v_add_f64 v[102:103], v[110:111], -v[102:103]
	v_add_f64 v[110:111], v[118:119], -v[126:127]
	v_fma_f64 v[108:109], v[147:148], s[20:21], v[108:109]
	v_fma_f64 v[98:99], v[122:123], s[8:9], v[98:99]
	v_add_f64 v[116:117], v[116:117], v[124:125]
	v_fma_f64 v[88:89], v[147:148], s[18:19], v[88:89]
	v_fma_f64 v[139:140], v[167:168], s[20:21], v[139:140]
	;; [unrolled: 1-line block ×3, first 2 shown]
	v_add_f64 v[94:95], v[94:95], v[100:101]
	v_fma_f64 v[92:93], v[165:166], s[20:21], v[92:93]
	v_fma_f64 v[100:101], v[122:123], s[20:21], v[149:150]
	v_add_f64 v[102:103], v[102:103], v[110:111]
	v_fma_f64 v[98:99], v[147:148], s[10:11], v[98:99]
	v_fma_f64 v[108:109], v[116:117], s[16:17], v[108:109]
	;; [unrolled: 1-line block ×3, first 2 shown]
	v_add_f64 v[110:111], v[145:146], v[118:119]
	v_fma_f64 v[118:119], v[120:121], s[16:17], v[139:140]
	v_fma_f64 v[120:121], v[94:95], s[16:17], v[141:142]
	;; [unrolled: 1-line block ×5, first 2 shown]
	v_mul_f64 v[100:101], v[108:109], s[10:11]
	v_fma_f64 v[102:103], v[102:103], s[16:17], v[88:89]
	v_add_f64 v[139:140], v[110:111], v[126:127]
	v_mul_f64 v[122:123], v[118:119], s[22:23]
	v_add_f64 v[88:89], v[104:105], v[96:97]
	v_mul_f64 v[116:117], v[92:93], s[16:17]
	v_mul_f64 v[110:111], v[94:95], s[8:9]
	;; [unrolled: 1-line block ×3, first 2 shown]
	v_fma_f64 v[141:142], v[90:91], s[22:23], v[100:101]
	v_mul_f64 v[90:91], v[90:91], s[20:21]
	v_mul_f64 v[100:101], v[120:121], s[18:19]
	;; [unrolled: 1-line block ×3, first 2 shown]
	v_fma_f64 v[98:99], v[98:99], s[10:11], -v[122:123]
	v_fma_f64 v[102:103], v[102:103], s[8:9], -v[116:117]
	v_fma_f64 v[147:148], v[120:121], s[16:17], v[110:111]
	v_fma_f64 v[145:146], v[118:119], s[20:21], -v[145:146]
	v_add_f64 v[124:125], v[112:113], v[141:142]
	v_fma_f64 v[149:150], v[108:109], s[22:23], v[90:91]
	v_fma_f64 v[151:152], v[94:95], s[16:17], v[100:101]
	v_fma_f64 v[153:154], v[92:93], s[18:19], -v[126:127]
	v_add_f64 v[108:109], v[131:132], v[98:99]
	v_add_f64 v[116:117], v[135:136], v[102:103]
	;; [unrolled: 1-line block ×8, first 2 shown]
	v_add_f64 v[100:101], v[104:105], -v[96:97]
	v_add_f64 v[92:93], v[112:113], -v[141:142]
	;; [unrolled: 1-line block ×10, first 2 shown]
	ds_write_b128 v197, v[88:91]
	ds_write_b128 v197, v[124:127] offset:2288
	ds_write_b128 v197, v[120:123] offset:4576
	;; [unrolled: 1-line block ×9, first 2 shown]
	s_waitcnt lgkmcnt(0)
	s_barrier
	s_and_saveexec_b64 s[8:9], s[0:1]
	s_cbranch_execz .LBB0_13
; %bb.12:
	v_mov_b32_e32 v129, s15
	v_add_co_u32_e32 v173, vcc, s14, v197
	v_addc_co_u32_e32 v174, vcc, 0, v129, vcc
	v_add_co_u32_e32 v137, vcc, 0x5960, v173
	v_addc_co_u32_e32 v138, vcc, 0, v174, vcc
	;; [unrolled: 2-line block ×3, first 2 shown]
	s_movk_i32 s11, 0x7000
	v_add_co_u32_e32 v145, vcc, s11, v173
	v_addc_co_u32_e32 v146, vcc, 0, v174, vcc
	s_mov_b32 s11, 0x8000
	v_add_co_u32_e32 v153, vcc, s11, v173
	v_addc_co_u32_e32 v154, vcc, 0, v174, vcc
	s_mov_b32 s11, 0x9000
	v_add_co_u32_e32 v169, vcc, s11, v173
	global_load_dwordx4 v[129:132], v[129:130], off offset:2400
	s_nop 0
	global_load_dwordx4 v[133:136], v[137:138], off offset:1760
	s_nop 0
	global_load_dwordx4 v[137:140], v[137:138], off offset:3520
	s_movk_i32 s10, 0x6000
	v_addc_co_u32_e32 v170, vcc, 0, v174, vcc
	v_add_co_u32_e32 v161, vcc, s10, v173
	global_load_dwordx4 v[141:144], v[145:146], off offset:1248
	s_nop 0
	global_load_dwordx4 v[145:148], v[145:146], off offset:3008
	s_nop 0
	global_load_dwordx4 v[149:152], v[153:154], off offset:672
	s_nop 0
	global_load_dwordx4 v[153:156], v[153:154], off offset:2432
	v_addc_co_u32_e32 v162, vcc, 0, v174, vcc
	global_load_dwordx4 v[157:160], v[169:170], off offset:96
	s_mov_b32 s10, 0xa000
	global_load_dwordx4 v[161:164], v[161:162], off offset:3584
	s_nop 0
	global_load_dwordx4 v[165:168], v[169:170], off offset:1856
	s_nop 0
	global_load_dwordx4 v[169:172], v[169:170], off offset:3616
	v_add_co_u32_e32 v177, vcc, s10, v173
	v_addc_co_u32_e32 v178, vcc, 0, v174, vcc
	global_load_dwordx4 v[173:176], v[177:178], off offset:1280
	s_nop 0
	global_load_dwordx4 v[177:180], v[177:178], off offset:3040
	ds_read_b128 v[181:184], v197
	ds_read_b128 v[185:188], v197 offset:1760
	ds_read_b128 v[189:192], v197 offset:3520
	;; [unrolled: 1-line block ×9, first 2 shown]
	s_waitcnt vmcnt(12) lgkmcnt(9)
	v_mul_f64 v[242:243], v[181:182], v[131:132]
	s_waitcnt vmcnt(11) lgkmcnt(8)
	v_mul_f64 v[226:227], v[187:188], v[135:136]
	v_mul_f64 v[135:136], v[185:186], v[135:136]
	s_waitcnt vmcnt(10) lgkmcnt(7)
	v_mul_f64 v[228:229], v[191:192], v[139:140]
	;; [unrolled: 3-line block ×5, first 2 shown]
	s_waitcnt vmcnt(5) lgkmcnt(1)
	v_mul_f64 v[238:239], v[220:221], v[159:160]
	v_mul_f64 v[240:241], v[218:219], v[159:160]
	;; [unrolled: 1-line block ×3, first 2 shown]
	s_waitcnt vmcnt(4)
	v_mul_f64 v[244:245], v[195:196], v[163:164]
	v_mul_f64 v[163:164], v[193:194], v[163:164]
	v_fma_f64 v[131:132], v[185:186], v[133:134], -v[226:227]
	v_fma_f64 v[133:134], v[187:188], v[133:134], v[135:136]
	v_fma_f64 v[135:136], v[189:190], v[137:138], -v[228:229]
	v_fma_f64 v[137:138], v[191:192], v[137:138], v[139:140]
	v_mul_f64 v[151:152], v[210:211], v[151:152]
	v_mul_f64 v[236:237], v[216:217], v[155:156]
	;; [unrolled: 1-line block ×3, first 2 shown]
	v_fma_f64 v[139:140], v[202:203], v[141:142], -v[230:231]
	v_fma_f64 v[141:142], v[204:205], v[141:142], v[143:144]
	v_fma_f64 v[181:182], v[181:182], v[129:130], -v[159:160]
	v_fma_f64 v[183:184], v[183:184], v[129:130], v[242:243]
	;; [unrolled: 2-line block ×3, first 2 shown]
	ds_write_b128 v197, v[131:134] offset:1760
	ds_write_b128 v197, v[135:138] offset:3520
	;; [unrolled: 1-line block ×3, first 2 shown]
	ds_write_b128 v197, v[181:184]
	ds_write_b128 v197, v[159:162] offset:5280
	ds_read_b128 v[137:140], v197 offset:17600
	v_fma_f64 v[143:144], v[206:207], v[145:146], -v[232:233]
	v_fma_f64 v[145:146], v[208:209], v[145:146], v[147:148]
	v_fma_f64 v[147:148], v[210:211], v[149:150], -v[234:235]
	v_fma_f64 v[149:150], v[212:213], v[149:150], v[151:152]
	;; [unrolled: 2-line block ×3, first 2 shown]
	ds_read_b128 v[151:154], v197 offset:19360
	v_fma_f64 v[133:134], v[218:219], v[157:158], -v[238:239]
	v_fma_f64 v[135:136], v[220:221], v[157:158], v[240:241]
	ds_read_b128 v[155:158], v197 offset:21120
	s_waitcnt vmcnt(3) lgkmcnt(8)
	v_mul_f64 v[141:142], v[224:225], v[167:168]
	v_mul_f64 v[161:162], v[222:223], v[167:168]
	s_waitcnt vmcnt(2) lgkmcnt(2)
	v_mul_f64 v[163:164], v[139:140], v[171:172]
	v_mul_f64 v[167:168], v[137:138], v[171:172]
	;; [unrolled: 3-line block ×4, first 2 shown]
	v_fma_f64 v[159:160], v[222:223], v[165:166], -v[141:142]
	v_fma_f64 v[161:162], v[224:225], v[165:166], v[161:162]
	v_fma_f64 v[137:138], v[137:138], v[169:170], -v[163:164]
	v_fma_f64 v[139:140], v[139:140], v[169:170], v[167:168]
	;; [unrolled: 2-line block ×4, first 2 shown]
	ds_write_b128 v197, v[143:146] offset:8800
	ds_write_b128 v197, v[147:150] offset:10560
	;; [unrolled: 1-line block ×8, first 2 shown]
.LBB0_13:
	s_or_b64 exec, exec, s[8:9]
	s_waitcnt lgkmcnt(0)
	s_barrier
	s_and_saveexec_b64 s[8:9], s[0:1]
	s_cbranch_execz .LBB0_15
; %bb.14:
	ds_read_b128 v[88:91], v197
	ds_read_b128 v[124:127], v197 offset:1760
	ds_read_b128 v[120:123], v197 offset:3520
	;; [unrolled: 1-line block ×12, first 2 shown]
.LBB0_15:
	s_or_b64 exec, exec, s[8:9]
	s_waitcnt lgkmcnt(11)
	v_add_f64 v[135:136], v[90:91], v[126:127]
	v_add_f64 v[133:134], v[88:89], v[124:125]
	s_waitcnt lgkmcnt(0)
	v_add_f64 v[131:132], v[126:127], v[82:83]
	v_add_f64 v[137:138], v[126:127], -v[82:83]
	v_add_f64 v[129:130], v[124:125], v[80:81]
	v_add_f64 v[141:142], v[124:125], -v[80:81]
	s_mov_b32 s20, 0x66966769
	s_mov_b32 s21, 0xbfefc445
	v_add_f64 v[126:127], v[135:136], v[122:123]
	v_add_f64 v[124:125], v[133:134], v[120:121]
	s_mov_b32 s16, 0xebaa3ed8
	v_mul_f64 v[145:146], v[137:138], s[20:21]
	s_mov_b32 s38, 0x24c2f84
	s_mov_b32 s26, 0xd0032e0c
	;; [unrolled: 1-line block ×4, first 2 shown]
	v_add_f64 v[126:127], v[126:127], v[118:119]
	v_add_f64 v[124:125], v[124:125], v[116:117]
	s_mov_b32 s27, 0xbfe7f3cc
	v_mul_f64 v[147:148], v[131:132], s[16:17]
	v_mul_f64 v[153:154], v[137:138], s[38:39]
	;; [unrolled: 1-line block ×3, first 2 shown]
	v_fma_f64 v[165:166], v[129:130], s[16:17], v[145:146]
	v_fma_f64 v[145:146], v[129:130], s[16:17], -v[145:146]
	v_add_f64 v[126:127], v[126:127], v[110:111]
	v_add_f64 v[124:125], v[124:125], v[108:109]
	s_mov_b32 s34, 0x4267c47c
	s_mov_b32 s24, 0x42a4c3d2
	;; [unrolled: 1-line block ×6, first 2 shown]
	v_add_f64 v[126:127], v[126:127], v[102:103]
	v_add_f64 v[124:125], v[124:125], v[100:101]
	s_mov_b32 s23, 0x3fefc445
	s_mov_b32 s29, 0xbfedeba7
	s_mov_b32 s41, 0x3fe5384d
	s_mov_b32 s22, s20
	s_mov_b32 s43, 0xbfcea1e5
	s_mov_b32 s40, s38
	v_add_f64 v[143:144], v[126:127], v[94:95]
	v_add_f64 v[139:140], v[124:125], v[92:93]
	v_mul_f64 v[124:125], v[137:138], s[34:35]
	v_mul_f64 v[133:134], v[137:138], s[24:25]
	v_mul_f64 v[149:150], v[137:138], s[28:29]
	v_fma_f64 v[167:168], v[141:142], s[22:23], v[147:148]
	v_fma_f64 v[147:148], v[141:142], s[20:21], v[147:148]
	;; [unrolled: 1-line block ×3, first 2 shown]
	v_add_f64 v[143:144], v[143:144], v[98:99]
	v_add_f64 v[139:140], v[139:140], v[96:97]
	;; [unrolled: 1-line block ×3, first 2 shown]
	v_fma_f64 v[145:146], v[141:142], s[38:39], v[155:156]
	v_add_f64 v[181:182], v[122:123], -v[78:79]
	s_mov_b32 s8, 0xe00740e9
	s_mov_b32 s18, 0xb2365da1
	;; [unrolled: 1-line block ×3, first 2 shown]
	v_add_f64 v[143:144], v[143:144], v[106:107]
	v_add_f64 v[139:140], v[139:140], v[104:105]
	s_mov_b32 s9, 0x3fec55a7
	s_mov_b32 s19, 0xbfd6b1d8
	;; [unrolled: 1-line block ×3, first 2 shown]
	v_mul_f64 v[126:127], v[141:142], s[34:35]
	v_mul_f64 v[151:152], v[131:132], s[18:19]
	v_fma_f64 v[157:158], v[129:130], s[8:9], v[124:125]
	v_add_f64 v[143:144], v[143:144], v[114:115]
	v_add_f64 v[139:140], v[139:140], v[112:113]
	;; [unrolled: 1-line block ×3, first 2 shown]
	v_mul_f64 v[179:180], v[131:132], s[36:37]
	v_add_f64 v[183:184], v[120:121], -v[76:77]
	v_add_f64 v[187:188], v[90:91], v[145:146]
	v_add_f64 v[145:146], v[120:121], v[76:77]
	s_mov_b32 s10, 0x1ea71119
	v_add_f64 v[143:144], v[143:144], v[86:87]
	v_add_f64 v[139:140], v[139:140], v[84:85]
	s_mov_b32 s11, 0x3fe22d96
	s_mov_b32 s31, 0x3fedeba7
	s_mov_b32 s30, s28
	s_mov_b32 s45, 0x3fcea1e5
	s_mov_b32 s44, s42
	v_mul_f64 v[135:136], v[141:142], s[24:25]
	v_add_f64 v[143:144], v[143:144], v[78:79]
	v_add_f64 v[139:140], v[139:140], v[76:77]
	v_fma_f64 v[159:160], v[131:132], s[8:9], -v[126:127]
	v_fma_f64 v[161:162], v[129:130], s[10:11], v[133:134]
	v_fma_f64 v[171:172], v[141:142], s[30:31], v[151:152]
	v_fma_f64 v[151:152], v[141:142], s[28:29], v[151:152]
	v_add_f64 v[157:158], v[88:89], v[157:158]
	v_mul_f64 v[120:121], v[181:182], s[42:43]
	v_add_f64 v[82:83], v[143:144], v[82:83]
	v_mul_f64 v[143:144], v[137:138], s[42:43]
	v_fma_f64 v[137:138], v[141:142], s[40:41], v[155:156]
	v_add_f64 v[80:81], v[139:140], v[80:81]
	v_fma_f64 v[139:140], v[129:130], s[26:27], -v[153:154]
	v_add_f64 v[155:156], v[88:89], v[173:174]
	v_fma_f64 v[153:154], v[141:142], s[44:45], v[179:180]
	v_fma_f64 v[163:164], v[131:132], s[10:11], -v[135:136]
	v_fma_f64 v[169:170], v[129:130], s[18:19], v[149:150]
	v_fma_f64 v[147:148], v[129:130], s[36:37], v[143:144]
	v_add_f64 v[173:174], v[90:91], v[137:138]
	v_mul_f64 v[137:138], v[181:182], s[24:25]
	v_add_f64 v[185:186], v[88:89], v[139:140]
	v_mul_f64 v[139:140], v[183:184], s[24:25]
	v_fma_f64 v[149:150], v[129:130], s[18:19], -v[149:150]
	v_add_f64 v[159:160], v[90:91], v[159:160]
	v_add_f64 v[161:162], v[88:89], v[161:162]
	;; [unrolled: 1-line block ×4, first 2 shown]
	v_fma_f64 v[78:79], v[141:142], s[42:43], v[179:180]
	v_mul_f64 v[141:142], v[181:182], s[28:29]
	v_fma_f64 v[179:180], v[145:146], s[10:11], v[137:138]
	v_add_f64 v[165:166], v[88:89], v[165:166]
	v_fma_f64 v[76:77], v[129:130], s[36:37], -v[143:144]
	v_mul_f64 v[143:144], v[183:184], s[28:29]
	v_fma_f64 v[202:203], v[145:146], s[36:37], v[120:121]
	v_mul_f64 v[122:123], v[147:148], s[36:37]
	v_fma_f64 v[191:192], v[147:148], s[10:11], -v[139:140]
	v_fma_f64 v[193:194], v[145:146], s[18:19], v[141:142]
	v_add_f64 v[179:180], v[179:180], v[157:158]
	v_mul_f64 v[157:158], v[181:182], s[40:41]
	v_add_f64 v[163:164], v[90:91], v[163:164]
	v_add_f64 v[167:168], v[90:91], v[167:168]
	;; [unrolled: 1-line block ×4, first 2 shown]
	v_fma_f64 v[195:196], v[147:148], s[18:19], -v[143:144]
	v_fma_f64 v[204:205], v[183:184], s[44:45], v[122:123]
	v_add_f64 v[191:192], v[191:192], v[159:160]
	v_mul_f64 v[159:160], v[147:148], s[26:27]
	v_add_f64 v[161:162], v[193:194], v[161:162]
	v_add_f64 v[165:166], v[202:203], v[165:166]
	v_fma_f64 v[120:121], v[145:146], s[36:37], -v[120:121]
	v_fma_f64 v[193:194], v[145:146], s[26:27], v[157:158]
	v_fma_f64 v[157:158], v[145:146], s[26:27], -v[157:158]
	v_mul_f64 v[202:203], v[181:182], s[22:23]
	s_mov_b32 s47, 0x3fddbe06
	s_mov_b32 s46, s34
	v_add_f64 v[171:172], v[90:91], v[171:172]
	v_add_f64 v[151:152], v[90:91], v[151:152]
	;; [unrolled: 1-line block ×4, first 2 shown]
	v_fma_f64 v[122:123], v[183:184], s[42:43], v[122:123]
	v_fma_f64 v[195:196], v[183:184], s[38:39], v[159:160]
	;; [unrolled: 1-line block ×3, first 2 shown]
	v_mul_f64 v[204:205], v[147:148], s[16:17]
	v_add_f64 v[120:121], v[120:121], v[175:176]
	v_add_f64 v[169:170], v[193:194], v[169:170]
	;; [unrolled: 1-line block ×3, first 2 shown]
	v_fma_f64 v[149:150], v[145:146], s[16:17], v[202:203]
	v_mul_f64 v[181:182], v[181:182], s[46:47]
	v_mul_f64 v[193:194], v[147:148], s[8:9]
	v_fma_f64 v[157:158], v[145:146], s[16:17], -v[202:203]
	v_add_f64 v[202:203], v[118:119], -v[86:87]
	v_add_f64 v[153:154], v[90:91], v[153:154]
	v_add_f64 v[122:123], v[122:123], v[177:178]
	;; [unrolled: 1-line block ×4, first 2 shown]
	v_fma_f64 v[151:152], v[183:184], s[20:21], v[204:205]
	v_fma_f64 v[159:160], v[183:184], s[22:23], v[204:205]
	v_add_f64 v[195:196], v[149:150], v[155:156]
	v_add_f64 v[204:205], v[116:117], -v[84:85]
	v_fma_f64 v[155:156], v[145:146], s[8:9], v[181:182]
	v_fma_f64 v[206:207], v[183:184], s[34:35], v[193:194]
	v_add_f64 v[185:186], v[157:158], v[185:186]
	v_add_f64 v[157:158], v[116:117], v[84:85]
	v_mul_f64 v[149:150], v[202:203], s[20:21]
	v_add_f64 v[76:77], v[88:89], v[76:77]
	v_add_f64 v[78:79], v[90:91], v[78:79]
	;; [unrolled: 1-line block ×5, first 2 shown]
	v_mul_f64 v[151:152], v[204:205], s[20:21]
	v_add_f64 v[84:85], v[155:156], v[189:190]
	v_add_f64 v[86:87], v[206:207], v[153:154]
	v_mul_f64 v[153:154], v[202:203], s[42:43]
	v_fma_f64 v[116:117], v[145:146], s[8:9], -v[181:182]
	v_fma_f64 v[118:119], v[183:184], s[46:47], v[193:194]
	v_mul_f64 v[155:156], v[204:205], s[42:43]
	v_fma_f64 v[181:182], v[157:158], s[16:17], v[149:150]
	v_mul_f64 v[189:190], v[202:203], s[30:31]
	v_fma_f64 v[183:184], v[159:160], s[16:17], -v[151:152]
	v_mul_f64 v[193:194], v[159:160], s[18:19]
	v_fma_f64 v[206:207], v[157:158], s[36:37], v[153:154]
	v_add_f64 v[76:77], v[116:117], v[76:77]
	v_add_f64 v[78:79], v[118:119], v[78:79]
	v_fma_f64 v[116:117], v[159:160], s[36:37], -v[155:156]
	v_add_f64 v[118:119], v[181:182], v[179:180]
	v_fma_f64 v[181:182], v[157:158], s[18:19], v[189:190]
	v_add_f64 v[179:180], v[183:184], v[191:192]
	v_fma_f64 v[183:184], v[204:205], s[28:29], v[193:194]
	v_add_f64 v[191:192], v[206:207], v[161:162]
	v_fma_f64 v[161:162], v[157:158], s[18:19], -v[189:190]
	v_fma_f64 v[189:190], v[204:205], s[30:31], v[193:194]
	v_add_f64 v[116:117], v[116:117], v[163:164]
	v_mul_f64 v[163:164], v[202:203], s[46:47]
	v_add_f64 v[181:182], v[181:182], v[165:166]
	v_mul_f64 v[165:166], v[202:203], s[24:25]
	v_mul_f64 v[193:194], v[159:160], s[8:9]
	v_add_f64 v[183:184], v[183:184], v[167:168]
	v_add_f64 v[120:121], v[161:162], v[120:121]
	v_mul_f64 v[161:162], v[159:160], s[10:11]
	s_mov_b32 s49, 0x3fea55e2
	v_fma_f64 v[167:168], v[157:158], s[8:9], v[163:164]
	s_mov_b32 s48, s24
	v_fma_f64 v[206:207], v[157:158], s[10:11], v[165:166]
	v_add_f64 v[122:123], v[189:190], v[122:123]
	v_fma_f64 v[189:190], v[204:205], s[34:35], v[193:194]
	v_fma_f64 v[163:164], v[157:158], s[8:9], -v[163:164]
	v_fma_f64 v[193:194], v[204:205], s[46:47], v[193:194]
	v_fma_f64 v[208:209], v[204:205], s[48:49], v[161:162]
	v_add_f64 v[210:211], v[167:168], v[169:170]
	v_mul_f64 v[167:168], v[202:203], s[38:39]
	v_add_f64 v[195:196], v[206:207], v[195:196]
	v_add_f64 v[202:203], v[110:111], -v[114:115]
	v_add_f64 v[206:207], v[108:109], -v[112:113]
	v_add_f64 v[189:190], v[189:190], v[171:172]
	v_add_f64 v[175:176], v[163:164], v[175:176]
	;; [unrolled: 1-line block ×3, first 2 shown]
	v_mul_f64 v[193:194], v[159:160], s[26:27]
	v_add_f64 v[173:174], v[208:209], v[173:174]
	v_fma_f64 v[165:166], v[157:158], s[10:11], -v[165:166]
	v_fma_f64 v[208:209], v[204:205], s[24:25], v[161:162]
	v_add_f64 v[169:170], v[108:109], v[112:113]
	v_add_f64 v[171:172], v[110:111], v[114:115]
	v_mul_f64 v[161:162], v[202:203], s[28:29]
	v_mul_f64 v[163:164], v[206:207], s[28:29]
	v_fma_f64 v[212:213], v[157:158], s[26:27], v[167:168]
	v_fma_f64 v[214:215], v[204:205], s[40:41], v[193:194]
	v_add_f64 v[108:109], v[165:166], v[185:186]
	v_add_f64 v[110:111], v[208:209], v[187:188]
	v_fma_f64 v[112:113], v[157:158], s[26:27], -v[167:168]
	v_fma_f64 v[114:115], v[204:205], s[38:39], v[193:194]
	v_fma_f64 v[185:186], v[169:170], s[18:19], v[161:162]
	v_fma_f64 v[187:188], v[171:172], s[18:19], -v[163:164]
	v_mul_f64 v[167:168], v[206:207], s[40:41]
	v_mul_f64 v[193:194], v[202:203], s[46:47]
	;; [unrolled: 1-line block ×4, first 2 shown]
	v_add_f64 v[76:77], v[112:113], v[76:77]
	v_add_f64 v[78:79], v[114:115], v[78:79]
	v_add_f64 v[112:113], v[185:186], v[118:119]
	v_add_f64 v[114:115], v[187:188], v[179:180]
	v_fma_f64 v[179:180], v[171:172], s[26:27], -v[167:168]
	v_fma_f64 v[185:186], v[169:170], s[8:9], v[193:194]
	v_mul_f64 v[208:209], v[202:203], s[20:21]
	v_fma_f64 v[193:194], v[169:170], s[8:9], -v[193:194]
	v_add_f64 v[84:85], v[212:213], v[84:85]
	v_fma_f64 v[118:119], v[169:170], s[26:27], v[165:166]
	v_fma_f64 v[187:188], v[206:207], s[34:35], v[204:205]
	v_mul_f64 v[212:213], v[171:172], s[16:17]
	v_add_f64 v[116:117], v[179:180], v[116:117]
	v_add_f64 v[181:182], v[185:186], v[181:182]
	v_fma_f64 v[179:180], v[169:170], s[16:17], v[208:209]
	v_add_f64 v[120:121], v[193:194], v[120:121]
	v_mul_f64 v[185:186], v[202:203], s[44:45]
	v_fma_f64 v[193:194], v[169:170], s[16:17], -v[208:209]
	v_mul_f64 v[202:203], v[202:203], s[48:49]
	v_fma_f64 v[204:205], v[206:207], s[46:47], v[204:205]
	v_add_f64 v[118:119], v[118:119], v[191:192]
	v_add_f64 v[187:188], v[187:188], v[183:184]
	v_fma_f64 v[183:184], v[206:207], s[22:23], v[212:213]
	v_mul_f64 v[191:192], v[171:172], s[36:37]
	v_add_f64 v[208:209], v[179:180], v[210:211]
	v_fma_f64 v[179:180], v[169:170], s[36:37], v[185:186]
	v_add_f64 v[193:194], v[193:194], v[175:176]
	v_fma_f64 v[175:176], v[169:170], s[36:37], -v[185:186]
	v_fma_f64 v[185:186], v[169:170], s[10:11], v[202:203]
	v_add_f64 v[86:87], v[214:215], v[86:87]
	v_add_f64 v[122:123], v[204:205], v[122:123]
	v_fma_f64 v[204:205], v[206:207], s[20:21], v[212:213]
	v_add_f64 v[189:190], v[183:184], v[189:190]
	v_mul_f64 v[210:211], v[171:172], s[10:11]
	v_fma_f64 v[183:184], v[206:207], s[42:43], v[191:192]
	v_add_f64 v[214:215], v[102:103], -v[106:107]
	v_add_f64 v[216:217], v[100:101], -v[104:105]
	v_add_f64 v[84:85], v[185:186], v[84:85]
	v_add_f64 v[185:186], v[102:103], v[106:107]
	;; [unrolled: 1-line block ×3, first 2 shown]
	v_fma_f64 v[177:178], v[206:207], s[44:45], v[191:192]
	v_fma_f64 v[191:192], v[206:207], s[24:25], v[210:211]
	v_add_f64 v[212:213], v[183:184], v[173:174]
	v_add_f64 v[108:109], v[175:176], v[108:109]
	;; [unrolled: 1-line block ×3, first 2 shown]
	v_mul_f64 v[173:174], v[214:215], s[38:39]
	v_mul_f64 v[175:176], v[216:217], s[38:39]
	v_fma_f64 v[102:103], v[206:207], s[48:49], v[210:211]
	v_mul_f64 v[106:107], v[185:186], s[10:11]
	v_add_f64 v[195:196], v[179:180], v[195:196]
	v_add_f64 v[110:111], v[177:178], v[110:111]
	;; [unrolled: 1-line block ×3, first 2 shown]
	v_mul_f64 v[177:178], v[214:215], s[22:23]
	v_mul_f64 v[179:180], v[216:217], s[22:23]
	v_fma_f64 v[100:101], v[169:170], s[10:11], -v[202:203]
	v_mul_f64 v[104:105], v[214:215], s[24:25]
	v_fma_f64 v[191:192], v[183:184], s[26:27], v[173:174]
	v_fma_f64 v[202:203], v[185:186], s[26:27], -v[175:176]
	v_add_f64 v[78:79], v[102:103], v[78:79]
	v_fma_f64 v[102:103], v[216:217], s[48:49], v[106:107]
	v_fma_f64 v[206:207], v[183:184], s[16:17], v[177:178]
	v_fma_f64 v[210:211], v[185:186], s[16:17], -v[179:180]
	v_add_f64 v[76:77], v[100:101], v[76:77]
	v_fma_f64 v[100:101], v[183:184], s[10:11], v[104:105]
	v_add_f64 v[112:113], v[191:192], v[112:113]
	v_add_f64 v[114:115], v[202:203], v[114:115]
	v_mul_f64 v[191:192], v[214:215], s[44:45]
	v_mul_f64 v[202:203], v[185:186], s[36:37]
	v_add_f64 v[102:103], v[102:103], v[187:188]
	v_fma_f64 v[106:107], v[216:217], s[24:25], v[106:107]
	v_mul_f64 v[187:188], v[185:186], s[8:9]
	v_add_f64 v[118:119], v[206:207], v[118:119]
	v_add_f64 v[116:117], v[210:211], v[116:117]
	;; [unrolled: 1-line block ×3, first 2 shown]
	v_fma_f64 v[104:105], v[183:184], s[10:11], -v[104:105]
	v_mul_f64 v[181:182], v[214:215], s[46:47]
	v_fma_f64 v[206:207], v[183:184], s[36:37], v[191:192]
	v_fma_f64 v[210:211], v[216:217], s[42:43], v[202:203]
	v_fma_f64 v[191:192], v[183:184], s[36:37], -v[191:192]
	v_fma_f64 v[202:203], v[216:217], s[44:45], v[202:203]
	v_add_f64 v[106:107], v[106:107], v[122:123]
	v_fma_f64 v[122:123], v[216:217], s[34:35], v[187:188]
	v_add_f64 v[104:105], v[104:105], v[120:121]
	;; [unrolled: 2-line block ×3, first 2 shown]
	v_add_f64 v[208:209], v[210:211], v[189:190]
	v_add_f64 v[210:211], v[191:192], v[193:194]
	;; [unrolled: 1-line block ×3, first 2 shown]
	v_mul_f64 v[189:190], v[214:215], s[28:29]
	v_mul_f64 v[191:192], v[185:186], s[18:19]
	v_add_f64 v[122:123], v[122:123], v[212:213]
	v_add_f64 v[204:205], v[94:95], -v[98:99]
	v_add_f64 v[212:213], v[92:93], -v[96:97]
	v_add_f64 v[120:121], v[120:121], v[195:196]
	v_fma_f64 v[214:215], v[183:184], s[8:9], -v[181:182]
	v_fma_f64 v[218:219], v[216:217], s[46:47], v[187:188]
	v_fma_f64 v[220:221], v[183:184], s[18:19], v[189:190]
	;; [unrolled: 1-line block ×3, first 2 shown]
	v_add_f64 v[195:196], v[92:93], v[96:97]
	v_add_f64 v[193:194], v[94:95], v[98:99]
	v_mul_f64 v[181:182], v[204:205], s[42:43]
	v_mul_f64 v[187:188], v[212:213], s[42:43]
	;; [unrolled: 1-line block ×3, first 2 shown]
	v_add_f64 v[214:215], v[214:215], v[108:109]
	v_add_f64 v[220:221], v[220:221], v[84:85]
	;; [unrolled: 1-line block ×3, first 2 shown]
	v_fma_f64 v[84:85], v[183:184], s[18:19], -v[189:190]
	v_fma_f64 v[86:87], v[216:217], s[28:29], v[191:192]
	v_fma_f64 v[92:93], v[195:196], s[36:37], v[181:182]
	v_fma_f64 v[94:95], v[193:194], s[36:37], -v[187:188]
	v_mul_f64 v[189:190], v[204:205], s[46:47]
	v_mul_f64 v[191:192], v[212:213], s[46:47]
	;; [unrolled: 1-line block ×3, first 2 shown]
	v_add_f64 v[218:219], v[218:219], v[110:111]
	v_add_f64 v[216:217], v[84:85], v[76:77]
	;; [unrolled: 1-line block ×5, first 2 shown]
	v_fma_f64 v[84:85], v[195:196], s[8:9], v[189:190]
	v_fma_f64 v[86:87], v[193:194], s[8:9], -v[191:192]
	v_fma_f64 v[92:93], v[195:196], s[26:27], v[96:97]
	v_fma_f64 v[94:95], v[212:213], s[40:41], v[98:99]
	v_mul_f64 v[108:109], v[204:205], s[48:49]
	v_mul_f64 v[110:111], v[193:194], s[10:11]
	v_fma_f64 v[96:97], v[195:196], s[26:27], -v[96:97]
	v_fma_f64 v[98:99], v[212:213], s[38:39], v[98:99]
	v_add_f64 v[84:85], v[84:85], v[118:119]
	v_add_f64 v[86:87], v[86:87], v[116:117]
	;; [unrolled: 1-line block ×4, first 2 shown]
	v_fma_f64 v[100:101], v[195:196], s[10:11], v[108:109]
	v_fma_f64 v[102:103], v[212:213], s[24:25], v[110:111]
	v_fma_f64 v[108:109], v[195:196], s[10:11], -v[108:109]
	v_fma_f64 v[110:111], v[212:213], s[48:49], v[110:111]
	v_mul_f64 v[112:113], v[204:205], s[28:29]
	v_mul_f64 v[114:115], v[193:194], s[18:19]
	;; [unrolled: 1-line block ×4, first 2 shown]
	v_add_f64 v[96:97], v[96:97], v[104:105]
	v_add_f64 v[98:99], v[98:99], v[106:107]
	v_add_f64 v[104:105], v[100:101], v[206:207]
	v_add_f64 v[106:107], v[102:103], v[208:209]
	v_add_f64 v[100:101], v[108:109], v[210:211]
	v_add_f64 v[102:103], v[110:111], v[202:203]
	v_fma_f64 v[108:109], v[195:196], s[18:19], v[112:113]
	v_fma_f64 v[110:111], v[212:213], s[30:31], v[114:115]
	v_fma_f64 v[112:113], v[195:196], s[18:19], -v[112:113]
	v_fma_f64 v[114:115], v[212:213], s[28:29], v[114:115]
	v_fma_f64 v[202:203], v[195:196], s[16:17], v[116:117]
	;; [unrolled: 1-line block ×3, first 2 shown]
	v_fma_f64 v[206:207], v[195:196], s[16:17], -v[116:117]
	v_fma_f64 v[208:209], v[212:213], s[22:23], v[118:119]
	v_add_f64 v[108:109], v[108:109], v[120:121]
	v_add_f64 v[110:111], v[110:111], v[122:123]
	;; [unrolled: 1-line block ×8, first 2 shown]
	s_barrier
	s_and_saveexec_b64 s[20:21], s[0:1]
	s_cbranch_execz .LBB0_17
; %bb.16:
	v_mul_f64 v[202:203], v[129:130], s[8:9]
	v_mul_f64 v[204:205], v[131:132], s[8:9]
	;; [unrolled: 1-line block ×8, first 2 shown]
	v_add_f64 v[124:125], v[202:203], -v[124:125]
	v_add_f64 v[126:127], v[126:127], v[204:205]
	v_add_f64 v[129:130], v[129:130], -v[133:134]
	v_add_f64 v[131:132], v[135:136], v[131:132]
	v_mul_f64 v[210:211], v[157:158], s[16:17]
	v_mul_f64 v[212:213], v[159:160], s[16:17]
	;; [unrolled: 1-line block ×4, first 2 shown]
	v_add_f64 v[143:144], v[143:144], v[147:148]
	v_add_f64 v[141:142], v[145:146], -v[141:142]
	v_add_f64 v[129:130], v[88:89], v[129:130]
	v_add_f64 v[131:132], v[90:91], v[131:132]
	;; [unrolled: 1-line block ×4, first 2 shown]
	v_add_f64 v[126:127], v[206:207], -v[137:138]
	v_add_f64 v[88:89], v[88:89], v[124:125]
	v_mul_f64 v[214:215], v[169:170], s[18:19]
	v_mul_f64 v[216:217], v[171:172], s[18:19]
	;; [unrolled: 1-line block ×4, first 2 shown]
	v_add_f64 v[124:125], v[155:156], v[159:160]
	v_add_f64 v[131:132], v[143:144], v[131:132]
	v_add_f64 v[137:138], v[157:158], -v[153:154]
	v_add_f64 v[129:130], v[141:142], v[129:130]
	v_add_f64 v[141:142], v[151:152], v[212:213]
	;; [unrolled: 1-line block ×3, first 2 shown]
	v_add_f64 v[139:140], v[210:211], -v[149:150]
	v_add_f64 v[88:89], v[126:127], v[88:89]
	v_mul_f64 v[218:219], v[183:184], s[26:27]
	v_mul_f64 v[220:221], v[185:186], s[26:27]
	;; [unrolled: 1-line block ×3, first 2 shown]
	v_add_f64 v[126:127], v[167:168], v[171:172]
	v_add_f64 v[124:125], v[124:125], v[131:132]
	v_add_f64 v[131:132], v[169:170], -v[165:166]
	v_add_f64 v[129:130], v[137:138], v[129:130]
	v_add_f64 v[137:138], v[163:164], v[216:217]
	;; [unrolled: 1-line block ×3, first 2 shown]
	v_mul_f64 v[185:186], v[185:186], s[16:17]
	v_add_f64 v[141:142], v[214:215], -v[161:162]
	v_add_f64 v[88:89], v[139:140], v[88:89]
	v_mul_f64 v[135:136], v[193:194], s[36:37]
	v_mul_f64 v[133:134], v[195:196], s[8:9]
	v_add_f64 v[124:125], v[126:127], v[124:125]
	v_add_f64 v[126:127], v[183:184], -v[177:178]
	v_add_f64 v[129:130], v[131:132], v[129:130]
	v_add_f64 v[131:132], v[175:176], v[220:221]
	;; [unrolled: 1-line block ×3, first 2 shown]
	v_mul_f64 v[222:223], v[195:196], s[36:37]
	v_mul_f64 v[193:194], v[193:194], s[8:9]
	v_add_f64 v[139:140], v[179:180], v[185:186]
	v_add_f64 v[137:138], v[218:219], -v[173:174]
	v_add_f64 v[88:89], v[141:142], v[88:89]
	v_add_f64 v[133:134], v[133:134], -v[189:190]
	v_add_f64 v[126:127], v[126:127], v[129:130]
	v_add_f64 v[129:130], v[187:188], v[135:136]
	;; [unrolled: 1-line block ×5, first 2 shown]
	v_add_f64 v[135:136], v[222:223], -v[181:182]
	v_add_f64 v[137:138], v[137:138], v[88:89]
	v_add_f64 v[88:89], v[133:134], v[126:127]
	v_add_f64 v[126:127], v[129:130], v[131:132]
	v_lshlrev_b32_e32 v129, 4, v201
	v_add_f64 v[90:91], v[141:142], v[124:125]
	v_add_f64 v[124:125], v[135:136], v[137:138]
	ds_write_b128 v129, v[80:83]
	ds_write_b128 v129, v[76:79] offset:16
	ds_write_b128 v129, v[84:87] offset:32
	;; [unrolled: 1-line block ×12, first 2 shown]
.LBB0_17:
	s_or_b64 exec, exec, s[20:21]
	s_waitcnt lgkmcnt(0)
	s_barrier
	s_and_saveexec_b64 s[8:9], s[2:3]
	s_cbranch_execz .LBB0_19
; %bb.18:
	ds_read_b128 v[80:83], v197
	ds_read_b128 v[76:79], v197 offset:2080
	ds_read_b128 v[84:87], v197 offset:4160
	;; [unrolled: 1-line block ×10, first 2 shown]
.LBB0_19:
	s_or_b64 exec, exec, s[8:9]
	s_waitcnt lgkmcnt(0)
	s_barrier
	s_and_saveexec_b64 s[8:9], s[2:3]
	s_cbranch_execz .LBB0_21
; %bb.20:
	v_mul_f64 v[88:89], v[30:31], v[110:111]
	v_mul_f64 v[90:91], v[26:27], v[118:119]
	;; [unrolled: 1-line block ×8, first 2 shown]
	v_fma_f64 v[26:27], v[28:29], v[108:109], v[88:89]
	v_fma_f64 v[14:15], v[24:25], v[116:117], v[90:91]
	v_mul_f64 v[108:109], v[38:39], v[120:121]
	v_mul_f64 v[116:117], v[10:11], v[94:95]
	v_fma_f64 v[88:89], v[28:29], v[110:111], -v[30:31]
	v_fma_f64 v[38:39], v[24:25], v[118:119], -v[124:125]
	v_fma_f64 v[24:25], v[32:33], v[112:113], v[133:134]
	v_mul_f64 v[110:111], v[10:11], v[92:93]
	v_mul_f64 v[112:113], v[34:35], v[112:113]
	v_fma_f64 v[28:29], v[36:37], v[120:121], v[129:130]
	v_fma_f64 v[30:31], v[36:37], v[122:123], -v[108:109]
	v_fma_f64 v[36:37], v[8:9], v[92:93], v[116:117]
	v_mul_f64 v[120:121], v[6:7], v[78:79]
	v_mul_f64 v[122:123], v[18:19], v[98:99]
	;; [unrolled: 1-line block ×3, first 2 shown]
	v_fma_f64 v[34:35], v[8:9], v[94:95], -v[110:111]
	v_fma_f64 v[8:9], v[32:33], v[114:115], -v[112:113]
	v_mul_f64 v[32:33], v[2:3], v[86:87]
	v_mul_f64 v[112:113], v[22:23], v[102:103]
	;; [unrolled: 1-line block ×4, first 2 shown]
	v_fma_f64 v[90:91], v[12:13], v[104:105], v[126:127]
	s_mov_b32 s24, 0xfd768dbf
	s_mov_b32 s25, 0xbfd207e7
	v_fma_f64 v[106:107], v[12:13], v[106:107], -v[131:132]
	v_fma_f64 v[110:111], v[0:1], v[84:85], v[32:33]
	v_fma_f64 v[32:33], v[20:21], v[100:101], v[112:113]
	v_mul_f64 v[84:85], v[2:3], v[84:85]
	v_fma_f64 v[112:113], v[4:5], v[76:77], v[120:121]
	v_fma_f64 v[2:3], v[16:17], v[96:97], v[122:123]
	v_fma_f64 v[120:121], v[4:5], v[78:79], -v[6:7]
	v_fma_f64 v[4:5], v[16:17], v[98:99], -v[18:19]
	s_mov_b32 s30, 0xf8bb580b
	s_mov_b32 s22, 0x9bcd5057
	v_add_f64 v[122:123], v[110:111], -v[32:33]
	v_fma_f64 v[126:127], v[0:1], v[86:87], -v[84:85]
	v_fma_f64 v[0:1], v[20:21], v[102:103], -v[22:23]
	v_add_f64 v[124:125], v[112:113], -v[2:3]
	v_add_f64 v[137:138], v[112:113], v[2:3]
	v_add_f64 v[129:130], v[120:121], -v[4:5]
	v_add_f64 v[131:132], v[120:121], v[4:5]
	s_mov_b32 s31, 0x3fe14ced
	s_mov_b32 s23, 0xbfeeb42a
	v_add_f64 v[92:93], v[36:37], -v[24:25]
	v_add_f64 v[135:136], v[126:127], -v[0:1]
	v_mul_f64 v[16:17], v[124:125], s[24:25]
	v_mul_f64 v[18:19], v[122:123], s[30:31]
	;; [unrolled: 1-line block ×3, first 2 shown]
	v_add_f64 v[133:134], v[126:127], v[0:1]
	v_add_f64 v[139:140], v[34:35], -v[8:9]
	v_add_f64 v[141:142], v[110:111], v[32:33]
	s_mov_b32 s18, 0xbb3a28a1
	v_mul_f64 v[76:77], v[135:136], s[30:31]
	v_fma_f64 v[22:23], v[131:132], s[22:23], v[16:17]
	v_fma_f64 v[16:17], v[131:132], s[22:23], -v[16:17]
	v_fma_f64 v[78:79], v[137:138], s[22:23], -v[20:21]
	s_mov_b32 s26, 0x8764f0ba
	s_mov_b32 s19, 0xbfe82f19
	;; [unrolled: 1-line block ×3, first 2 shown]
	v_add_f64 v[108:109], v[90:91], -v[28:29]
	v_mul_f64 v[114:115], v[92:93], s[18:19]
	v_add_f64 v[94:95], v[34:35], v[8:9]
	v_fma_f64 v[84:85], v[133:134], s[26:27], v[18:19]
	v_add_f64 v[22:23], v[82:83], v[22:23]
	v_add_f64 v[145:146], v[36:37], v[24:25]
	v_mul_f64 v[86:87], v[139:140], s[18:19]
	v_fma_f64 v[96:97], v[141:142], s[26:27], -v[76:77]
	v_add_f64 v[78:79], v[80:81], v[78:79]
	v_fma_f64 v[18:19], v[133:134], s[26:27], -v[18:19]
	v_add_f64 v[16:17], v[82:83], v[16:17]
	s_mov_b32 s20, 0x7f775887
	s_mov_b32 s11, 0x3fed1bb4
	;; [unrolled: 1-line block ×4, first 2 shown]
	v_mul_f64 v[118:119], v[108:109], s[10:11]
	v_add_f64 v[10:11], v[106:107], v[30:31]
	v_fma_f64 v[6:7], v[94:95], s[20:21], v[114:115]
	v_add_f64 v[143:144], v[106:107], -v[30:31]
	v_add_f64 v[22:23], v[84:85], v[22:23]
	v_fma_f64 v[98:99], v[145:146], s[20:21], -v[86:87]
	v_add_f64 v[78:79], v[96:97], v[78:79]
	v_fma_f64 v[96:97], v[94:95], s[20:21], -v[114:115]
	v_add_f64 v[16:17], v[18:19], v[16:17]
	s_mov_b32 s16, 0xd9c712b6
	s_mov_b32 s17, 0x3fda9628
	v_add_f64 v[104:105], v[26:27], -v[14:15]
	v_add_f64 v[149:150], v[90:91], v[28:29]
	v_mul_f64 v[84:85], v[143:144], s[10:11]
	v_fma_f64 v[18:19], v[10:11], s[16:17], v[118:119]
	v_add_f64 v[6:7], v[6:7], v[22:23]
	v_add_f64 v[78:79], v[98:99], v[78:79]
	v_fma_f64 v[98:99], v[10:11], s[16:17], -v[118:119]
	v_add_f64 v[16:17], v[96:97], v[16:17]
	v_fma_f64 v[20:21], v[137:138], s[22:23], v[20:21]
	s_mov_b32 s2, 0x43842ef
	s_mov_b32 s3, 0xbfefac9e
	v_mul_f64 v[116:117], v[104:105], s[2:3]
	v_add_f64 v[12:13], v[88:89], v[38:39]
	v_fma_f64 v[100:101], v[149:150], s[16:17], -v[84:85]
	v_add_f64 v[6:7], v[18:19], v[6:7]
	v_add_f64 v[98:99], v[98:99], v[16:17]
	v_fma_f64 v[16:17], v[141:142], s[26:27], v[76:77]
	v_mul_f64 v[18:19], v[124:125], s[18:19]
	v_add_f64 v[20:21], v[80:81], v[20:21]
	v_fma_f64 v[76:77], v[149:150], s[16:17], v[84:85]
	v_mul_f64 v[84:85], v[129:130], s[18:19]
	s_mov_b32 s28, 0x640f44db
	s_mov_b32 s29, 0xbfc2375f
	;; [unrolled: 1-line block ×4, first 2 shown]
	v_fma_f64 v[96:97], v[12:13], s[28:29], v[116:117]
	v_add_f64 v[78:79], v[100:101], v[78:79]
	v_fma_f64 v[100:101], v[12:13], s[28:29], -v[116:117]
	v_mul_f64 v[116:117], v[122:123], s[36:37]
	v_fma_f64 v[118:119], v[131:132], s[20:21], v[18:19]
	v_add_f64 v[16:17], v[16:17], v[20:21]
	v_mul_f64 v[151:152], v[135:136], s[36:37]
	v_fma_f64 v[20:21], v[137:138], s[20:21], -v[84:85]
	s_mov_b32 s35, 0xbfe14ced
	s_mov_b32 s34, s30
	v_add_f64 v[147:148], v[88:89], -v[38:39]
	v_fma_f64 v[86:87], v[145:146], s[20:21], v[86:87]
	v_mul_f64 v[153:154], v[92:93], s[34:35]
	v_fma_f64 v[155:156], v[133:134], s[28:29], v[116:117]
	v_add_f64 v[118:119], v[82:83], v[118:119]
	v_mul_f64 v[157:158], v[139:140], s[34:35]
	v_fma_f64 v[159:160], v[141:142], s[28:29], -v[151:152]
	v_add_f64 v[20:21], v[80:81], v[20:21]
	v_fma_f64 v[18:19], v[131:132], s[20:21], -v[18:19]
	v_add_f64 v[114:115], v[26:27], v[14:15]
	v_mul_f64 v[22:23], v[147:148], s[2:3]
	v_add_f64 v[16:17], v[86:87], v[16:17]
	v_mul_f64 v[86:87], v[108:109], s[24:25]
	v_fma_f64 v[161:162], v[94:95], s[26:27], v[153:154]
	v_add_f64 v[118:119], v[155:156], v[118:119]
	v_fma_f64 v[163:164], v[145:146], s[26:27], -v[157:158]
	v_add_f64 v[20:21], v[159:160], v[20:21]
	v_fma_f64 v[116:117], v[133:134], s[28:29], -v[116:117]
	;; [unrolled: 2-line block ×3, first 2 shown]
	v_mul_f64 v[155:156], v[143:144], s[24:25]
	v_mul_f64 v[159:160], v[104:105], s[10:11]
	v_fma_f64 v[165:166], v[10:11], s[22:23], v[86:87]
	v_add_f64 v[118:119], v[161:162], v[118:119]
	v_add_f64 v[20:21], v[163:164], v[20:21]
	v_fma_f64 v[163:164], v[114:115], s[28:29], v[22:23]
	v_fma_f64 v[22:23], v[94:95], s[26:27], -v[153:154]
	v_add_f64 v[116:117], v[116:117], v[18:19]
	v_mul_f64 v[161:162], v[147:148], s[10:11]
	v_fma_f64 v[167:168], v[149:150], s[22:23], -v[155:156]
	v_fma_f64 v[153:154], v[12:13], s[16:17], v[159:160]
	v_add_f64 v[118:119], v[165:166], v[118:119]
	v_add_f64 v[18:19], v[96:97], v[6:7]
	v_fma_f64 v[6:7], v[10:11], s[22:23], -v[86:87]
	v_mul_f64 v[96:97], v[124:125], s[2:3]
	v_add_f64 v[86:87], v[22:23], v[116:117]
	v_add_f64 v[22:23], v[100:101], v[98:99]
	v_fma_f64 v[84:85], v[137:138], s[20:21], v[84:85]
	v_mul_f64 v[100:101], v[129:130], s[2:3]
	s_mov_b32 s39, 0x3fd207e7
	s_mov_b32 s38, s24
	v_add_f64 v[76:77], v[76:77], v[16:17]
	v_fma_f64 v[165:166], v[114:115], s[16:17], -v[161:162]
	v_add_f64 v[167:168], v[167:168], v[20:21]
	v_add_f64 v[16:17], v[102:103], v[78:79]
	;; [unrolled: 1-line block ×4, first 2 shown]
	v_mul_f64 v[102:103], v[122:123], s[38:39]
	v_fma_f64 v[86:87], v[131:132], s[28:29], v[96:97]
	v_fma_f64 v[118:119], v[141:142], s[28:29], v[151:152]
	v_mul_f64 v[151:152], v[135:136], s[38:39]
	v_fma_f64 v[153:154], v[137:138], s[28:29], -v[100:101]
	v_add_f64 v[84:85], v[80:81], v[84:85]
	v_add_f64 v[20:21], v[163:164], v[76:77]
	;; [unrolled: 1-line block ×3, first 2 shown]
	v_fma_f64 v[98:99], v[12:13], s[16:17], -v[159:160]
	v_fma_f64 v[116:117], v[114:115], s[16:17], v[161:162]
	v_mul_f64 v[159:160], v[92:93], s[10:11]
	v_fma_f64 v[161:162], v[133:134], s[22:23], v[102:103]
	v_add_f64 v[86:87], v[82:83], v[86:87]
	v_fma_f64 v[157:158], v[145:146], s[26:27], v[157:158]
	v_mul_f64 v[163:164], v[139:140], s[10:11]
	v_fma_f64 v[165:166], v[141:142], s[22:23], -v[151:152]
	v_add_f64 v[153:154], v[80:81], v[153:154]
	v_add_f64 v[84:85], v[118:119], v[84:85]
	v_mul_f64 v[118:119], v[108:109], s[34:35]
	v_fma_f64 v[167:168], v[94:95], s[16:17], v[159:160]
	v_add_f64 v[86:87], v[161:162], v[86:87]
	v_fma_f64 v[155:156], v[149:150], s[22:23], v[155:156]
	v_mul_f64 v[161:162], v[143:144], s[34:35]
	v_fma_f64 v[169:170], v[145:146], s[16:17], -v[163:164]
	v_add_f64 v[153:154], v[165:166], v[153:154]
	v_add_f64 v[84:85], v[157:158], v[84:85]
	v_mul_f64 v[157:158], v[104:105], s[18:19]
	v_fma_f64 v[165:166], v[10:11], s[26:27], v[118:119]
	v_add_f64 v[167:168], v[167:168], v[86:87]
	v_mul_f64 v[171:172], v[147:148], s[18:19]
	v_fma_f64 v[96:97], v[131:132], s[28:29], -v[96:97]
	v_fma_f64 v[173:174], v[149:150], s[26:27], -v[161:162]
	v_add_f64 v[153:154], v[169:170], v[153:154]
	v_add_f64 v[84:85], v[155:156], v[84:85]
	s_mov_b32 s11, 0xbfed1bb4
	v_add_f64 v[86:87], v[98:99], v[6:7]
	v_fma_f64 v[6:7], v[12:13], s[20:21], v[157:158]
	v_add_f64 v[98:99], v[165:166], v[167:168]
	v_fma_f64 v[102:103], v[133:134], s[22:23], -v[102:103]
	v_add_f64 v[96:97], v[82:83], v[96:97]
	v_fma_f64 v[155:156], v[114:115], s[20:21], -v[171:172]
	v_add_f64 v[153:154], v[173:174], v[153:154]
	v_add_f64 v[84:85], v[116:117], v[84:85]
	v_mul_f64 v[116:117], v[124:125], s[10:11]
	v_fma_f64 v[159:160], v[94:95], s[16:17], -v[159:160]
	v_fma_f64 v[100:101], v[137:138], s[28:29], v[100:101]
	v_add_f64 v[98:99], v[6:7], v[98:99]
	v_add_f64 v[102:103], v[102:103], v[96:97]
	v_fma_f64 v[6:7], v[10:11], s[26:27], -v[118:119]
	v_add_f64 v[96:97], v[155:156], v[153:154]
	v_mul_f64 v[118:119], v[122:123], s[18:19]
	v_fma_f64 v[153:154], v[131:132], s[16:17], v[116:117]
	v_fma_f64 v[151:152], v[141:142], s[22:23], v[151:152]
	v_add_f64 v[100:101], v[80:81], v[100:101]
	v_fma_f64 v[155:156], v[12:13], s[20:21], -v[157:158]
	v_add_f64 v[102:103], v[159:160], v[102:103]
	v_mul_f64 v[157:158], v[129:130], s[10:11]
	v_mul_f64 v[159:160], v[92:93], s[38:39]
	v_fma_f64 v[165:166], v[133:134], s[20:21], v[118:119]
	v_add_f64 v[153:154], v[82:83], v[153:154]
	v_add_f64 v[120:121], v[82:83], v[120:121]
	;; [unrolled: 1-line block ×3, first 2 shown]
	v_fma_f64 v[163:164], v[145:146], s[16:17], v[163:164]
	v_add_f64 v[100:101], v[151:152], v[100:101]
	v_add_f64 v[6:7], v[6:7], v[102:103]
	v_mul_f64 v[151:152], v[135:136], s[18:19]
	v_fma_f64 v[102:103], v[137:138], s[16:17], -v[157:158]
	v_mul_f64 v[167:168], v[108:109], s[36:37]
	v_fma_f64 v[169:170], v[94:95], s[22:23], v[159:160]
	v_add_f64 v[153:154], v[165:166], v[153:154]
	v_add_f64 v[120:121], v[120:121], v[126:127]
	v_add_f64 v[110:111], v[112:113], v[110:111]
	v_fma_f64 v[161:162], v[149:150], s[26:27], v[161:162]
	v_add_f64 v[100:101], v[163:164], v[100:101]
	v_mul_f64 v[163:164], v[139:140], s[38:39]
	v_fma_f64 v[165:166], v[141:142], s[20:21], -v[151:152]
	v_add_f64 v[102:103], v[80:81], v[102:103]
	v_mul_f64 v[173:174], v[104:105], s[30:31]
	v_fma_f64 v[175:176], v[10:11], s[28:29], v[167:168]
	v_add_f64 v[153:154], v[169:170], v[153:154]
	v_add_f64 v[34:35], v[120:121], v[34:35]
	;; [unrolled: 1-line block ×3, first 2 shown]
	v_fma_f64 v[177:178], v[145:146], s[22:23], -v[163:164]
	v_add_f64 v[100:101], v[161:162], v[100:101]
	v_add_f64 v[102:103], v[165:166], v[102:103]
	v_fma_f64 v[161:162], v[12:13], s[26:27], v[173:174]
	v_fma_f64 v[157:158], v[137:138], s[16:17], v[157:158]
	v_add_f64 v[153:154], v[175:176], v[153:154]
	v_mul_f64 v[124:125], v[124:125], s[34:35]
	v_add_f64 v[34:35], v[34:35], v[106:107]
	v_add_f64 v[36:37], v[36:37], v[90:91]
	v_fma_f64 v[151:152], v[141:142], s[20:21], v[151:152]
	v_add_f64 v[177:178], v[177:178], v[102:103]
	v_add_f64 v[102:103], v[155:156], v[6:7]
	;; [unrolled: 1-line block ×4, first 2 shown]
	v_mul_f64 v[122:123], v[122:123], s[10:11]
	v_fma_f64 v[161:162], v[131:132], s[26:27], v[124:125]
	v_mul_f64 v[90:91], v[129:130], s[34:35]
	v_fma_f64 v[116:117], v[131:132], s[16:17], -v[116:117]
	v_add_f64 v[34:35], v[34:35], v[88:89]
	v_add_f64 v[26:27], v[36:37], v[26:27]
	;; [unrolled: 1-line block ×3, first 2 shown]
	v_mul_f64 v[157:158], v[92:93], s[2:3]
	v_fma_f64 v[112:113], v[133:134], s[16:17], v[122:123]
	v_add_f64 v[126:127], v[82:83], v[161:162]
	v_fma_f64 v[124:125], v[131:132], s[26:27], -v[124:125]
	v_mul_f64 v[129:130], v[135:136], s[10:11]
	v_fma_f64 v[36:37], v[137:138], s[26:27], v[90:91]
	v_fma_f64 v[118:119], v[133:134], s[20:21], -v[118:119]
	v_add_f64 v[116:117], v[82:83], v[116:117]
	v_fma_f64 v[90:91], v[137:138], s[26:27], -v[90:91]
	v_add_f64 v[34:35], v[34:35], v[38:39]
	v_add_f64 v[14:15], v[26:27], v[14:15]
	v_fma_f64 v[110:111], v[94:95], s[28:29], v[157:158]
	v_add_f64 v[112:113], v[112:113], v[126:127]
	v_mul_f64 v[88:89], v[139:140], s[2:3]
	v_fma_f64 v[122:123], v[133:134], s[16:17], -v[122:123]
	v_add_f64 v[82:83], v[82:83], v[124:125]
	v_fma_f64 v[124:125], v[141:142], s[16:17], v[129:130]
	v_add_f64 v[26:27], v[80:81], v[36:37]
	v_fma_f64 v[155:156], v[94:95], s[22:23], -v[159:160]
	v_add_f64 v[116:117], v[118:119], v[116:117]
	v_fma_f64 v[36:37], v[141:142], s[16:17], -v[129:130]
	v_add_f64 v[38:39], v[80:81], v[90:91]
	v_add_f64 v[30:31], v[34:35], v[30:31]
	;; [unrolled: 1-line block ×3, first 2 shown]
	v_mul_f64 v[108:109], v[108:109], s[18:19]
	v_add_f64 v[106:107], v[110:111], v[112:113]
	v_mul_f64 v[112:113], v[143:144], s[18:19]
	v_fma_f64 v[80:81], v[94:95], s[28:29], -v[157:158]
	v_add_f64 v[82:83], v[122:123], v[82:83]
	v_fma_f64 v[90:91], v[145:146], s[28:29], v[88:89]
	v_add_f64 v[26:27], v[124:125], v[26:27]
	v_fma_f64 v[169:170], v[114:115], s[20:21], v[171:172]
	v_mul_f64 v[171:172], v[143:144], s[36:37]
	v_fma_f64 v[159:160], v[10:11], s[28:29], -v[167:168]
	v_add_f64 v[116:117], v[155:156], v[116:117]
	v_fma_f64 v[163:164], v[145:146], s[22:23], v[163:164]
	v_fma_f64 v[28:29], v[145:146], s[28:29], -v[88:89]
	v_add_f64 v[34:35], v[36:37], v[38:39]
	v_add_f64 v[8:9], v[30:31], v[8:9]
	;; [unrolled: 1-line block ×3, first 2 shown]
	v_mul_f64 v[104:105], v[104:105], s[24:25]
	v_fma_f64 v[126:127], v[10:11], s[20:21], v[108:109]
	v_mul_f64 v[110:111], v[147:148], s[24:25]
	v_fma_f64 v[10:11], v[10:11], s[20:21], -v[108:109]
	v_add_f64 v[36:37], v[80:81], v[82:83]
	v_fma_f64 v[38:39], v[149:150], s[20:21], v[112:113]
	v_add_f64 v[24:25], v[90:91], v[26:27]
	v_mul_f64 v[165:166], v[147:148], s[30:31]
	v_fma_f64 v[155:156], v[12:13], s[26:27], -v[173:174]
	v_add_f64 v[116:117], v[159:160], v[116:117]
	v_fma_f64 v[159:160], v[149:150], s[28:29], v[171:172]
	v_add_f64 v[151:152], v[163:164], v[151:152]
	v_fma_f64 v[175:176], v[149:150], s[28:29], -v[171:172]
	v_fma_f64 v[26:27], v[149:150], s[20:21], -v[112:113]
	v_add_f64 v[28:29], v[28:29], v[34:35]
	v_add_f64 v[0:1], v[8:9], v[0:1]
	v_add_f64 v[8:9], v[14:15], v[32:33]
	v_fma_f64 v[30:31], v[12:13], s[22:23], -v[104:105]
	v_add_f64 v[10:11], v[10:11], v[36:37]
	v_fma_f64 v[34:35], v[114:115], s[22:23], v[110:111]
	v_add_f64 v[24:25], v[38:39], v[24:25]
	v_add_f64 v[92:93], v[155:156], v[116:117]
	v_fma_f64 v[116:117], v[114:115], s[26:27], v[165:166]
	v_add_f64 v[120:121], v[159:160], v[151:152]
	v_fma_f64 v[118:119], v[114:115], s[26:27], -v[165:166]
	v_add_f64 v[153:154], v[175:176], v[177:178]
	v_fma_f64 v[32:33], v[12:13], s[22:23], v[104:105]
	v_add_f64 v[36:37], v[126:127], v[106:107]
	v_fma_f64 v[38:39], v[114:115], s[22:23], -v[110:111]
	v_add_f64 v[26:27], v[26:27], v[28:29]
	v_add_f64 v[14:15], v[0:1], v[4:5]
	;; [unrolled: 1-line block ×7, first 2 shown]
	v_mul_u32_u24_e32 v24, 0x8f, v199
	v_add_lshl_u32 v24, v24, v200, 4
	v_add_f64 v[4:5], v[118:119], v[153:154]
	v_add_f64 v[2:3], v[32:33], v[36:37]
	v_add_f64 v[0:1], v[38:39], v[26:27]
	ds_write_b128 v24, v[12:15]
	ds_write_b128 v24, v[8:11] offset:208
	ds_write_b128 v24, v[90:93] offset:416
	;; [unrolled: 1-line block ×10, first 2 shown]
.LBB0_21:
	s_or_b64 exec, exec, s[8:9]
	s_waitcnt lgkmcnt(0)
	s_barrier
	ds_read_b128 v[0:3], v197
	ds_read_b128 v[4:7], v197 offset:2288
	ds_read_b128 v[8:11], v197 offset:4576
	;; [unrolled: 1-line block ×5, first 2 shown]
	s_waitcnt lgkmcnt(4)
	v_mul_f64 v[76:77], v[58:59], v[6:7]
	v_mul_f64 v[58:59], v[58:59], v[4:5]
	s_waitcnt lgkmcnt(3)
	v_mul_f64 v[78:79], v[50:51], v[10:11]
	v_mul_f64 v[50:51], v[50:51], v[8:9]
	ds_read_b128 v[24:27], v197 offset:13728
	ds_read_b128 v[28:31], v197 offset:16016
	;; [unrolled: 1-line block ×4, first 2 shown]
	s_mov_b32 s8, 0x134454ff
	s_mov_b32 s9, 0xbfee6f0e
	v_fma_f64 v[4:5], v[56:57], v[4:5], v[76:77]
	v_fma_f64 v[6:7], v[56:57], v[6:7], -v[58:59]
	s_waitcnt lgkmcnt(6)
	v_mul_f64 v[56:57], v[46:47], v[14:15]
	v_mul_f64 v[46:47], v[46:47], v[12:13]
	v_fma_f64 v[8:9], v[48:49], v[8:9], v[78:79]
	s_waitcnt lgkmcnt(5)
	v_mul_f64 v[58:59], v[42:43], v[18:19]
	v_fma_f64 v[10:11], v[48:49], v[10:11], -v[50:51]
	v_mul_f64 v[42:43], v[42:43], v[16:17]
	s_waitcnt lgkmcnt(4)
	v_mul_f64 v[48:49], v[70:71], v[22:23]
	s_waitcnt lgkmcnt(3)
	v_mul_f64 v[50:51], v[62:63], v[26:27]
	v_fma_f64 v[12:13], v[44:45], v[12:13], v[56:57]
	v_fma_f64 v[14:15], v[44:45], v[14:15], -v[46:47]
	v_mul_f64 v[44:45], v[70:71], v[20:21]
	v_fma_f64 v[16:17], v[40:41], v[16:17], v[58:59]
	v_add_f64 v[46:47], v[0:1], v[8:9]
	v_fma_f64 v[18:19], v[40:41], v[18:19], -v[42:43]
	v_fma_f64 v[20:21], v[68:69], v[20:21], v[48:49]
	v_fma_f64 v[40:41], v[60:61], v[24:25], v[50:51]
	s_waitcnt lgkmcnt(1)
	v_mul_f64 v[42:43], v[66:67], v[32:33]
	v_mul_f64 v[48:49], v[66:67], v[34:35]
	v_fma_f64 v[22:23], v[68:69], v[22:23], -v[44:45]
	v_mul_f64 v[24:25], v[62:63], v[24:25]
	v_add_f64 v[44:45], v[46:47], v[16:17]
	v_mul_f64 v[46:47], v[54:55], v[30:31]
	v_mul_f64 v[50:51], v[54:55], v[28:29]
	v_add_f64 v[54:55], v[16:17], v[40:41]
	v_fma_f64 v[34:35], v[64:65], v[34:35], -v[42:43]
	v_fma_f64 v[32:33], v[64:65], v[32:33], v[48:49]
	s_waitcnt lgkmcnt(0)
	v_mul_f64 v[42:43], v[74:75], v[38:39]
	v_mul_f64 v[48:49], v[74:75], v[36:37]
	v_add_f64 v[44:45], v[44:45], v[40:41]
	v_fma_f64 v[24:25], v[60:61], v[26:27], -v[24:25]
	v_fma_f64 v[26:27], v[52:53], v[28:29], v[46:47]
	v_fma_f64 v[28:29], v[54:55], -0.5, v[0:1]
	v_add_f64 v[46:47], v[10:11], -v[34:35]
	s_mov_b32 s3, 0x3fee6f0e
	v_fma_f64 v[36:37], v[72:73], v[36:37], v[42:43]
	s_mov_b32 s2, s8
	v_add_f64 v[42:43], v[44:45], v[32:33]
	v_add_f64 v[44:45], v[8:9], v[32:33]
	v_fma_f64 v[30:31], v[52:53], v[30:31], -v[50:51]
	v_fma_f64 v[38:39], v[72:73], v[38:39], -v[48:49]
	v_fma_f64 v[48:49], v[46:47], s[8:9], v[28:29]
	v_add_f64 v[50:51], v[18:19], -v[24:25]
	v_add_f64 v[52:53], v[8:9], -v[16:17]
	v_add_f64 v[54:55], v[32:33], -v[40:41]
	v_fma_f64 v[28:29], v[46:47], s[2:3], v[28:29]
	v_fma_f64 v[0:1], v[44:45], -0.5, v[0:1]
	s_mov_b32 s18, 0x4755a5e
	s_mov_b32 s19, 0xbfe2cf23
	;; [unrolled: 1-line block ×4, first 2 shown]
	v_fma_f64 v[44:45], v[50:51], s[18:19], v[48:49]
	v_add_f64 v[48:49], v[52:53], v[54:55]
	v_add_f64 v[52:53], v[18:19], v[24:25]
	v_fma_f64 v[28:29], v[50:51], s[10:11], v[28:29]
	v_fma_f64 v[54:55], v[50:51], s[2:3], v[0:1]
	v_add_f64 v[56:57], v[16:17], -v[8:9]
	v_add_f64 v[58:59], v[40:41], -v[32:33]
	v_add_f64 v[60:61], v[2:3], v[10:11]
	v_fma_f64 v[0:1], v[50:51], s[8:9], v[0:1]
	s_mov_b32 s16, 0x372fe950
	s_mov_b32 s17, 0x3fd3c6ef
	v_fma_f64 v[52:53], v[52:53], -0.5, v[2:3]
	v_add_f64 v[8:9], v[8:9], -v[32:33]
	v_fma_f64 v[32:33], v[48:49], s[16:17], v[44:45]
	v_fma_f64 v[44:45], v[48:49], s[16:17], v[28:29]
	;; [unrolled: 1-line block ×3, first 2 shown]
	v_add_f64 v[48:49], v[56:57], v[58:59]
	v_add_f64 v[50:51], v[60:61], v[18:19]
	v_fma_f64 v[0:1], v[46:47], s[10:11], v[0:1]
	v_add_f64 v[16:17], v[16:17], -v[40:41]
	v_fma_f64 v[54:55], v[8:9], s[2:3], v[52:53]
	v_add_f64 v[40:41], v[10:11], -v[18:19]
	v_add_f64 v[56:57], v[34:35], -v[24:25]
	v_fma_f64 v[52:53], v[8:9], s[8:9], v[52:53]
	v_add_f64 v[58:59], v[10:11], v[34:35]
	v_add_f64 v[46:47], v[50:51], v[24:25]
	v_fma_f64 v[28:29], v[48:49], s[16:17], v[28:29]
	v_add_f64 v[50:51], v[20:21], v[26:27]
	v_fma_f64 v[48:49], v[48:49], s[16:17], v[0:1]
	;; [unrolled: 2-line block ×4, first 2 shown]
	v_fma_f64 v[2:3], v[58:59], -0.5, v[2:3]
	v_add_f64 v[56:57], v[14:15], -v[38:39]
	v_fma_f64 v[50:51], v[50:51], -0.5, v[4:5]
	v_add_f64 v[46:47], v[46:47], v[34:35]
	v_add_f64 v[0:1], v[0:1], v[20:21]
	v_add_f64 v[10:11], v[18:19], -v[10:11]
	v_fma_f64 v[54:55], v[40:41], s[16:17], v[54:55]
	v_fma_f64 v[40:41], v[40:41], s[16:17], v[52:53]
	;; [unrolled: 1-line block ×3, first 2 shown]
	v_add_f64 v[18:19], v[24:25], -v[34:35]
	v_fma_f64 v[2:3], v[16:17], s[2:3], v[2:3]
	v_fma_f64 v[16:17], v[56:57], s[8:9], v[50:51]
	v_add_f64 v[24:25], v[22:23], -v[30:31]
	v_add_f64 v[34:35], v[12:13], -v[20:21]
	;; [unrolled: 1-line block ×3, first 2 shown]
	v_add_f64 v[60:61], v[12:13], v[36:37]
	v_add_f64 v[62:63], v[22:23], v[30:31]
	;; [unrolled: 1-line block ×3, first 2 shown]
	v_fma_f64 v[52:53], v[8:9], s[10:11], v[52:53]
	v_add_f64 v[10:11], v[10:11], v[18:19]
	v_fma_f64 v[2:3], v[8:9], s[18:19], v[2:3]
	v_fma_f64 v[8:9], v[24:25], s[18:19], v[16:17]
	v_add_f64 v[16:17], v[34:35], v[58:59]
	v_fma_f64 v[4:5], v[60:61], -0.5, v[4:5]
	v_fma_f64 v[18:19], v[56:57], s[2:3], v[50:51]
	v_fma_f64 v[34:35], v[62:63], -0.5, v[6:7]
	v_add_f64 v[50:51], v[12:13], -v[36:37]
	v_add_f64 v[60:61], v[0:1], v[36:37]
	v_add_f64 v[0:1], v[14:15], v[38:39]
	v_fma_f64 v[52:53], v[10:11], s[16:17], v[52:53]
	v_fma_f64 v[58:59], v[10:11], s[16:17], v[2:3]
	v_add_f64 v[62:63], v[20:21], -v[26:27]
	v_fma_f64 v[10:11], v[24:25], s[10:11], v[18:19]
	v_add_f64 v[64:65], v[14:15], -v[22:23]
	;; [unrolled: 2-line block ×3, first 2 shown]
	v_fma_f64 v[0:1], v[0:1], -0.5, v[6:7]
	v_add_f64 v[6:7], v[6:7], v[14:15]
	v_fma_f64 v[2:3], v[24:25], s[2:3], v[4:5]
	v_add_f64 v[12:13], v[20:21], -v[12:13]
	v_add_f64 v[20:21], v[26:27], -v[36:37]
	v_fma_f64 v[4:5], v[24:25], s[8:9], v[4:5]
	v_fma_f64 v[18:19], v[62:63], s[10:11], v[18:19]
	v_add_f64 v[24:25], v[64:65], v[66:67]
	v_fma_f64 v[26:27], v[62:63], s[8:9], v[0:1]
	v_add_f64 v[14:15], v[22:23], -v[14:15]
	v_add_f64 v[36:37], v[30:31], -v[38:39]
	v_fma_f64 v[0:1], v[62:63], s[2:3], v[0:1]
	v_add_f64 v[6:7], v[6:7], v[22:23]
	v_fma_f64 v[22:23], v[50:51], s[8:9], v[34:35]
	v_fma_f64 v[2:3], v[56:57], s[18:19], v[2:3]
	v_add_f64 v[12:13], v[12:13], v[20:21]
	v_fma_f64 v[4:5], v[56:57], s[10:11], v[4:5]
	v_fma_f64 v[18:19], v[24:25], s[16:17], v[18:19]
	;; [unrolled: 1-line block ×3, first 2 shown]
	v_add_f64 v[14:15], v[14:15], v[36:37]
	v_fma_f64 v[0:1], v[50:51], s[18:19], v[0:1]
	v_add_f64 v[6:7], v[6:7], v[30:31]
	v_fma_f64 v[22:23], v[62:63], s[18:19], v[22:23]
	v_fma_f64 v[8:9], v[16:17], s[16:17], v[8:9]
	;; [unrolled: 1-line block ×5, first 2 shown]
	v_mul_f64 v[4:5], v[18:19], s[18:19]
	v_fma_f64 v[16:17], v[14:15], s[16:17], v[20:21]
	v_fma_f64 v[14:15], v[14:15], s[16:17], v[0:1]
	v_add_f64 v[26:27], v[6:7], v[38:39]
	v_fma_f64 v[6:7], v[24:25], s[16:17], v[22:23]
	s_mov_b32 s20, 0x9b97f4a8
	s_mov_b32 s21, 0x3fe9e377
	v_mul_f64 v[18:19], v[18:19], s[20:21]
	v_fma_f64 v[22:23], v[8:9], s[20:21], v[4:5]
	v_mul_f64 v[4:5], v[16:17], s[8:9]
	v_mul_f64 v[20:21], v[14:15], s[8:9]
	s_mov_b32 s9, 0xbfd3c6ef
	s_mov_b32 s8, s16
	v_mul_f64 v[16:17], v[16:17], s[16:17]
	v_mul_f64 v[24:25], v[6:7], s[18:19]
	s_mov_b32 s19, 0xbfe9e377
	s_mov_b32 s18, s20
	v_mul_f64 v[14:15], v[14:15], s[8:9]
	v_mul_f64 v[6:7], v[6:7], s[18:19]
	v_fma_f64 v[38:39], v[8:9], s[10:11], v[18:19]
	v_fma_f64 v[30:31], v[2:3], s[16:17], v[4:5]
	;; [unrolled: 1-line block ×5, first 2 shown]
	v_add_f64 v[0:1], v[42:43], v[60:61]
	v_fma_f64 v[56:57], v[12:13], s[2:3], v[14:15]
	v_fma_f64 v[62:63], v[10:11], s[10:11], v[6:7]
	v_add_f64 v[2:3], v[46:47], v[26:27]
	v_add_f64 v[4:5], v[32:33], v[22:23]
	;; [unrolled: 1-line block ×9, first 2 shown]
	v_add_f64 v[20:21], v[42:43], -v[60:61]
	v_add_f64 v[24:25], v[32:33], -v[22:23]
	;; [unrolled: 1-line block ×10, first 2 shown]
	ds_write_b128 v197, v[0:3]
	ds_write_b128 v197, v[4:7] offset:2288
	ds_write_b128 v197, v[8:11] offset:4576
	;; [unrolled: 1-line block ×9, first 2 shown]
	s_waitcnt lgkmcnt(0)
	s_barrier
	s_and_b64 exec, exec, s[0:1]
	s_cbranch_execz .LBB0_23
; %bb.22:
	global_load_dwordx4 v[0:3], v197, s[14:15]
	global_load_dwordx4 v[4:7], v197, s[14:15] offset:1760
	v_mov_b32_e32 v12, s15
	v_add_co_u32_e32 v87, vcc, s14, v197
	global_load_dwordx4 v[8:11], v197, s[14:15] offset:3520
	s_movk_i32 s0, 0x1000
	v_addc_co_u32_e32 v88, vcc, 0, v12, vcc
	v_add_co_u32_e32 v16, vcc, s0, v87
	v_addc_co_u32_e32 v17, vcc, 0, v88, vcc
	global_load_dwordx4 v[12:15], v[16:17], off offset:1184
	v_mad_u64_u32 v[78:79], s[2:3], s4, v198, 0
	global_load_dwordx4 v[16:19], v[16:17], off offset:2944
	v_mad_u64_u32 v[76:77], s[0:1], s6, v128, 0
	s_mul_hi_u32 s6, s4, 0x6e0
	s_mul_i32 s2, s4, 0x6e0
	s_movk_i32 s4, 0x2000
	v_add_co_u32_e32 v52, vcc, s4, v87
	v_addc_co_u32_e32 v53, vcc, 0, v88, vcc
	ds_read_b128 v[20:23], v197
	ds_read_b128 v[24:27], v197 offset:1760
	ds_read_b128 v[28:31], v197 offset:3520
	;; [unrolled: 1-line block ×3, first 2 shown]
	global_load_dwordx4 v[36:39], v[52:53], off offset:608
	ds_read_b128 v[40:43], v197 offset:7040
	ds_read_b128 v[44:47], v197 offset:8800
	global_load_dwordx4 v[52:55], v[52:53], off offset:2368
	s_movk_i32 s4, 0x3000
	v_add_co_u32_e32 v80, vcc, s4, v87
	v_addc_co_u32_e32 v81, vcc, 0, v88, vcc
	ds_read_b128 v[48:51], v197 offset:21120
	global_load_dwordx4 v[56:59], v[80:81], off offset:32
	global_load_dwordx4 v[60:63], v[80:81], off offset:1792
	s_mul_i32 s3, s5, 0x6e0
	s_movk_i32 s8, 0x4000
	v_mov_b32_e32 v64, v77
	v_mov_b32_e32 v65, v79
	s_add_i32 s3, s6, s3
	v_add_co_u32_e32 v82, vcc, s8, v87
	v_mad_u64_u32 v[84:85], s[6:7], s7, v128, v[64:65]
	v_addc_co_u32_e32 v83, vcc, 0, v88, vcc
	v_mad_u64_u32 v[85:86], s[4:5], s5, v198, v[65:66]
	global_load_dwordx4 v[64:67], v[80:81], off offset:3552
	global_load_dwordx4 v[68:71], v[82:83], off offset:1216
	;; [unrolled: 1-line block ×3, first 2 shown]
	v_mov_b32_e32 v77, v84
	v_lshlrev_b64 v[76:77], 4, v[76:77]
	v_mov_b32_e32 v79, v85
	v_mov_b32_e32 v89, s13
	v_lshlrev_b64 v[78:79], 4, v[78:79]
	v_add_co_u32_e32 v76, vcc, s12, v76
	v_addc_co_u32_e32 v77, vcc, v89, v77, vcc
	v_add_co_u32_e32 v76, vcc, v76, v78
	v_addc_co_u32_e32 v77, vcc, v77, v79, vcc
	s_mov_b32 s0, 0xd118b474
	s_mov_b32 s1, 0x3f46ea28
	v_mov_b32_e32 v90, s3
	v_add_co_u32_e32 v82, vcc, s2, v76
	v_addc_co_u32_e32 v83, vcc, v77, v90, vcc
	v_mov_b32_e32 v91, s3
	s_movk_i32 s4, 0x5000
	s_waitcnt vmcnt(11) lgkmcnt(6)
	v_mul_f64 v[78:79], v[22:23], v[2:3]
	v_mul_f64 v[2:3], v[20:21], v[2:3]
	s_waitcnt vmcnt(10) lgkmcnt(5)
	v_mul_f64 v[80:81], v[26:27], v[6:7]
	v_mul_f64 v[6:7], v[24:25], v[6:7]
	;; [unrolled: 3-line block ×3, first 2 shown]
	v_fma_f64 v[20:21], v[20:21], v[0:1], v[78:79]
	v_fma_f64 v[2:3], v[0:1], v[22:23], -v[2:3]
	v_fma_f64 v[22:23], v[24:25], v[4:5], v[80:81]
	v_fma_f64 v[6:7], v[4:5], v[26:27], -v[6:7]
	s_waitcnt vmcnt(8) lgkmcnt(3)
	v_mul_f64 v[24:25], v[34:35], v[14:15]
	v_mul_f64 v[14:15], v[32:33], v[14:15]
	v_fma_f64 v[26:27], v[28:29], v[8:9], v[84:85]
	v_fma_f64 v[10:11], v[8:9], v[30:31], -v[10:11]
	v_mul_f64 v[0:1], v[20:21], s[0:1]
	v_mul_f64 v[2:3], v[2:3], s[0:1]
	;; [unrolled: 1-line block ×3, first 2 shown]
	s_waitcnt vmcnt(7) lgkmcnt(2)
	v_mul_f64 v[20:21], v[42:43], v[18:19]
	v_fma_f64 v[22:23], v[32:33], v[12:13], v[24:25]
	v_fma_f64 v[12:13], v[12:13], v[34:35], -v[14:15]
	v_mul_f64 v[6:7], v[6:7], s[0:1]
	v_mul_f64 v[18:19], v[40:41], v[18:19]
	;; [unrolled: 1-line block ×4, first 2 shown]
	global_store_dwordx4 v[76:77], v[0:3], off
	global_store_dwordx4 v[82:83], v[4:7], off
	v_mul_f64 v[0:1], v[22:23], s[0:1]
	v_mul_f64 v[2:3], v[12:13], s[0:1]
	v_fma_f64 v[6:7], v[40:41], v[16:17], v[20:21]
	v_add_co_u32_e32 v4, vcc, s2, v82
	v_addc_co_u32_e32 v5, vcc, v83, v91, vcc
	global_store_dwordx4 v[4:5], v[8:11], off
	s_waitcnt vmcnt(9) lgkmcnt(1)
	v_mul_f64 v[12:13], v[44:45], v[38:39]
	v_fma_f64 v[8:9], v[16:17], v[42:43], -v[18:19]
	v_mul_f64 v[10:11], v[46:47], v[38:39]
	v_mov_b32_e32 v15, s3
	v_add_co_u32_e32 v14, vcc, s2, v4
	v_addc_co_u32_e32 v15, vcc, v5, v15, vcc
	global_store_dwordx4 v[14:15], v[0:3], off
	v_fma_f64 v[12:13], v[36:37], v[46:47], -v[12:13]
	v_mul_f64 v[0:1], v[6:7], s[0:1]
	ds_read_b128 v[4:7], v197 offset:10560
	v_mul_f64 v[2:3], v[8:9], s[0:1]
	v_fma_f64 v[16:17], v[44:45], v[36:37], v[10:11]
	ds_read_b128 v[8:11], v197 offset:12320
	v_mov_b32_e32 v22, s3
	s_waitcnt vmcnt(9) lgkmcnt(1)
	v_mul_f64 v[18:19], v[6:7], v[54:55]
	v_mul_f64 v[20:21], v[4:5], v[54:55]
	v_add_co_u32_e32 v14, vcc, s2, v14
	v_addc_co_u32_e32 v15, vcc, v15, v22, vcc
	global_store_dwordx4 v[14:15], v[0:3], off
	v_add_co_u32_e32 v14, vcc, s2, v14
	v_mul_f64 v[0:1], v[16:17], s[0:1]
	v_mul_f64 v[2:3], v[12:13], s[0:1]
	v_fma_f64 v[4:5], v[4:5], v[52:53], v[18:19]
	v_fma_f64 v[6:7], v[52:53], v[6:7], -v[20:21]
	s_waitcnt vmcnt(9) lgkmcnt(0)
	v_mul_f64 v[12:13], v[10:11], v[58:59]
	v_mul_f64 v[16:17], v[8:9], v[58:59]
	v_addc_co_u32_e32 v15, vcc, v15, v22, vcc
	global_store_dwordx4 v[14:15], v[0:3], off
	s_nop 0
	v_mul_f64 v[0:1], v[4:5], s[0:1]
	v_mul_f64 v[2:3], v[6:7], s[0:1]
	ds_read_b128 v[4:7], v197 offset:14080
	v_fma_f64 v[12:13], v[8:9], v[56:57], v[12:13]
	v_fma_f64 v[16:17], v[56:57], v[10:11], -v[16:17]
	ds_read_b128 v[8:11], v197 offset:15840
	v_add_co_u32_e32 v14, vcc, s2, v14
	s_waitcnt vmcnt(9) lgkmcnt(1)
	v_mul_f64 v[18:19], v[6:7], v[62:63]
	v_mul_f64 v[20:21], v[4:5], v[62:63]
	v_addc_co_u32_e32 v15, vcc, v15, v22, vcc
	global_store_dwordx4 v[14:15], v[0:3], off
	v_add_co_u32_e32 v14, vcc, s2, v14
	v_mul_f64 v[0:1], v[12:13], s[0:1]
	v_mul_f64 v[2:3], v[16:17], s[0:1]
	v_fma_f64 v[4:5], v[4:5], v[60:61], v[18:19]
	v_fma_f64 v[6:7], v[60:61], v[6:7], -v[20:21]
	s_waitcnt vmcnt(9) lgkmcnt(0)
	v_mul_f64 v[12:13], v[10:11], v[66:67]
	v_mul_f64 v[16:17], v[8:9], v[66:67]
	v_addc_co_u32_e32 v15, vcc, v15, v22, vcc
	v_mov_b32_e32 v18, s3
	global_store_dwordx4 v[14:15], v[0:3], off
	v_add_co_u32_e32 v14, vcc, s2, v14
	v_mul_f64 v[0:1], v[4:5], s[0:1]
	v_mul_f64 v[2:3], v[6:7], s[0:1]
	v_fma_f64 v[12:13], v[8:9], v[64:65], v[12:13]
	v_fma_f64 v[16:17], v[64:65], v[10:11], -v[16:17]
	ds_read_b128 v[4:7], v197 offset:17600
	ds_read_b128 v[8:11], v197 offset:19360
	v_addc_co_u32_e32 v15, vcc, v15, v18, vcc
	s_waitcnt vmcnt(9) lgkmcnt(1)
	v_mul_f64 v[18:19], v[6:7], v[70:71]
	v_mul_f64 v[20:21], v[4:5], v[70:71]
	s_waitcnt vmcnt(8) lgkmcnt(0)
	v_mul_f64 v[22:23], v[10:11], v[74:75]
	v_mul_f64 v[24:25], v[8:9], v[74:75]
	global_store_dwordx4 v[14:15], v[0:3], off
	v_fma_f64 v[4:5], v[4:5], v[68:69], v[18:19]
	v_mul_f64 v[0:1], v[12:13], s[0:1]
	v_mul_f64 v[2:3], v[16:17], s[0:1]
	v_fma_f64 v[6:7], v[68:69], v[6:7], -v[20:21]
	v_fma_f64 v[8:9], v[8:9], v[72:73], v[22:23]
	v_fma_f64 v[10:11], v[72:73], v[10:11], -v[24:25]
	v_mov_b32_e32 v13, s3
	v_add_co_u32_e32 v12, vcc, s2, v14
	v_addc_co_u32_e32 v13, vcc, v15, v13, vcc
	global_store_dwordx4 v[12:13], v[0:3], off
	v_mov_b32_e32 v14, s3
	v_mul_f64 v[0:1], v[4:5], s[0:1]
	v_mul_f64 v[2:3], v[6:7], s[0:1]
	v_mul_f64 v[4:5], v[8:9], s[0:1]
	v_mul_f64 v[6:7], v[10:11], s[0:1]
	v_add_co_u32_e32 v8, vcc, s2, v12
	v_addc_co_u32_e32 v9, vcc, v13, v14, vcc
	global_store_dwordx4 v[8:9], v[0:3], off
	s_nop 0
	v_mov_b32_e32 v0, s3
	v_add_co_u32_e32 v8, vcc, s2, v8
	v_addc_co_u32_e32 v9, vcc, v9, v0, vcc
	v_add_co_u32_e32 v0, vcc, s4, v87
	global_store_dwordx4 v[8:9], v[4:7], off
	v_addc_co_u32_e32 v1, vcc, 0, v88, vcc
	global_load_dwordx4 v[0:3], v[0:1], off offset:640
	s_waitcnt vmcnt(0)
	v_mul_f64 v[4:5], v[50:51], v[2:3]
	v_mul_f64 v[2:3], v[48:49], v[2:3]
	v_fma_f64 v[4:5], v[48:49], v[0:1], v[4:5]
	v_fma_f64 v[2:3], v[0:1], v[50:51], -v[2:3]
	v_mul_f64 v[0:1], v[4:5], s[0:1]
	v_mul_f64 v[2:3], v[2:3], s[0:1]
	v_mov_b32_e32 v5, s3
	v_add_co_u32_e32 v4, vcc, s2, v8
	v_addc_co_u32_e32 v5, vcc, v9, v5, vcc
	global_store_dwordx4 v[4:5], v[0:3], off
.LBB0_23:
	s_endpgm
	.section	.rodata,"a",@progbits
	.p2align	6, 0x0
	.amdhsa_kernel bluestein_single_back_len1430_dim1_dp_op_CI_CI
		.amdhsa_group_segment_fixed_size 22880
		.amdhsa_private_segment_fixed_size 0
		.amdhsa_kernarg_size 104
		.amdhsa_user_sgpr_count 6
		.amdhsa_user_sgpr_private_segment_buffer 1
		.amdhsa_user_sgpr_dispatch_ptr 0
		.amdhsa_user_sgpr_queue_ptr 0
		.amdhsa_user_sgpr_kernarg_segment_ptr 1
		.amdhsa_user_sgpr_dispatch_id 0
		.amdhsa_user_sgpr_flat_scratch_init 0
		.amdhsa_user_sgpr_private_segment_size 0
		.amdhsa_uses_dynamic_stack 0
		.amdhsa_system_sgpr_private_segment_wavefront_offset 0
		.amdhsa_system_sgpr_workgroup_id_x 1
		.amdhsa_system_sgpr_workgroup_id_y 0
		.amdhsa_system_sgpr_workgroup_id_z 0
		.amdhsa_system_sgpr_workgroup_info 0
		.amdhsa_system_vgpr_workitem_id 0
		.amdhsa_next_free_vgpr 246
		.amdhsa_next_free_sgpr 50
		.amdhsa_reserve_vcc 1
		.amdhsa_reserve_flat_scratch 0
		.amdhsa_float_round_mode_32 0
		.amdhsa_float_round_mode_16_64 0
		.amdhsa_float_denorm_mode_32 3
		.amdhsa_float_denorm_mode_16_64 3
		.amdhsa_dx10_clamp 1
		.amdhsa_ieee_mode 1
		.amdhsa_fp16_overflow 0
		.amdhsa_exception_fp_ieee_invalid_op 0
		.amdhsa_exception_fp_denorm_src 0
		.amdhsa_exception_fp_ieee_div_zero 0
		.amdhsa_exception_fp_ieee_overflow 0
		.amdhsa_exception_fp_ieee_underflow 0
		.amdhsa_exception_fp_ieee_inexact 0
		.amdhsa_exception_int_div_zero 0
	.end_amdhsa_kernel
	.text
.Lfunc_end0:
	.size	bluestein_single_back_len1430_dim1_dp_op_CI_CI, .Lfunc_end0-bluestein_single_back_len1430_dim1_dp_op_CI_CI
                                        ; -- End function
	.section	.AMDGPU.csdata,"",@progbits
; Kernel info:
; codeLenInByte = 21324
; NumSgprs: 54
; NumVgprs: 246
; ScratchSize: 0
; MemoryBound: 0
; FloatMode: 240
; IeeeMode: 1
; LDSByteSize: 22880 bytes/workgroup (compile time only)
; SGPRBlocks: 6
; VGPRBlocks: 61
; NumSGPRsForWavesPerEU: 54
; NumVGPRsForWavesPerEU: 246
; Occupancy: 1
; WaveLimiterHint : 1
; COMPUTE_PGM_RSRC2:SCRATCH_EN: 0
; COMPUTE_PGM_RSRC2:USER_SGPR: 6
; COMPUTE_PGM_RSRC2:TRAP_HANDLER: 0
; COMPUTE_PGM_RSRC2:TGID_X_EN: 1
; COMPUTE_PGM_RSRC2:TGID_Y_EN: 0
; COMPUTE_PGM_RSRC2:TGID_Z_EN: 0
; COMPUTE_PGM_RSRC2:TIDIG_COMP_CNT: 0
	.type	__hip_cuid_1199f2cdc39a0031,@object ; @__hip_cuid_1199f2cdc39a0031
	.section	.bss,"aw",@nobits
	.globl	__hip_cuid_1199f2cdc39a0031
__hip_cuid_1199f2cdc39a0031:
	.byte	0                               ; 0x0
	.size	__hip_cuid_1199f2cdc39a0031, 1

	.ident	"AMD clang version 19.0.0git (https://github.com/RadeonOpenCompute/llvm-project roc-6.4.0 25133 c7fe45cf4b819c5991fe208aaa96edf142730f1d)"
	.section	".note.GNU-stack","",@progbits
	.addrsig
	.addrsig_sym __hip_cuid_1199f2cdc39a0031
	.amdgpu_metadata
---
amdhsa.kernels:
  - .args:
      - .actual_access:  read_only
        .address_space:  global
        .offset:         0
        .size:           8
        .value_kind:     global_buffer
      - .actual_access:  read_only
        .address_space:  global
        .offset:         8
        .size:           8
        .value_kind:     global_buffer
      - .actual_access:  read_only
        .address_space:  global
        .offset:         16
        .size:           8
        .value_kind:     global_buffer
      - .actual_access:  read_only
        .address_space:  global
        .offset:         24
        .size:           8
        .value_kind:     global_buffer
      - .actual_access:  read_only
        .address_space:  global
        .offset:         32
        .size:           8
        .value_kind:     global_buffer
      - .offset:         40
        .size:           8
        .value_kind:     by_value
      - .address_space:  global
        .offset:         48
        .size:           8
        .value_kind:     global_buffer
      - .address_space:  global
        .offset:         56
        .size:           8
        .value_kind:     global_buffer
      - .address_space:  global
        .offset:         64
        .size:           8
        .value_kind:     global_buffer
      - .address_space:  global
        .offset:         72
        .size:           8
        .value_kind:     global_buffer
      - .offset:         80
        .size:           4
        .value_kind:     by_value
      - .address_space:  global
        .offset:         88
        .size:           8
        .value_kind:     global_buffer
      - .address_space:  global
        .offset:         96
        .size:           8
        .value_kind:     global_buffer
    .group_segment_fixed_size: 22880
    .kernarg_segment_align: 8
    .kernarg_segment_size: 104
    .language:       OpenCL C
    .language_version:
      - 2
      - 0
    .max_flat_workgroup_size: 143
    .name:           bluestein_single_back_len1430_dim1_dp_op_CI_CI
    .private_segment_fixed_size: 0
    .sgpr_count:     54
    .sgpr_spill_count: 0
    .symbol:         bluestein_single_back_len1430_dim1_dp_op_CI_CI.kd
    .uniform_work_group_size: 1
    .uses_dynamic_stack: false
    .vgpr_count:     246
    .vgpr_spill_count: 0
    .wavefront_size: 64
amdhsa.target:   amdgcn-amd-amdhsa--gfx906
amdhsa.version:
  - 1
  - 2
...

	.end_amdgpu_metadata
